;; amdgpu-corpus repo=ROCm/rocFFT kind=compiled arch=gfx1030 opt=O3
	.text
	.amdgcn_target "amdgcn-amd-amdhsa--gfx1030"
	.amdhsa_code_object_version 6
	.protected	fft_rtc_fwd_len884_factors_13_4_17_wgs_204_tpt_68_halfLds_dp_ip_CI_unitstride_sbrr_C2R_dirReg ; -- Begin function fft_rtc_fwd_len884_factors_13_4_17_wgs_204_tpt_68_halfLds_dp_ip_CI_unitstride_sbrr_C2R_dirReg
	.globl	fft_rtc_fwd_len884_factors_13_4_17_wgs_204_tpt_68_halfLds_dp_ip_CI_unitstride_sbrr_C2R_dirReg
	.p2align	8
	.type	fft_rtc_fwd_len884_factors_13_4_17_wgs_204_tpt_68_halfLds_dp_ip_CI_unitstride_sbrr_C2R_dirReg,@function
fft_rtc_fwd_len884_factors_13_4_17_wgs_204_tpt_68_halfLds_dp_ip_CI_unitstride_sbrr_C2R_dirReg: ; @fft_rtc_fwd_len884_factors_13_4_17_wgs_204_tpt_68_halfLds_dp_ip_CI_unitstride_sbrr_C2R_dirReg
; %bb.0:
	s_load_dwordx4 s[8:11], s[4:5], 0x0
	v_mul_u32_u24_e32 v1, 0x3c4, v0
	s_clause 0x1
	s_load_dwordx2 s[2:3], s[4:5], 0x50
	s_load_dwordx2 s[12:13], s[4:5], 0x18
	v_mov_b32_e32 v5, 0
	v_mov_b32_e32 v3, 0
	;; [unrolled: 1-line block ×3, first 2 shown]
	v_lshrrev_b32_e32 v1, 16, v1
	v_mad_u64_u32 v[1:2], null, s6, 3, v[1:2]
	v_mov_b32_e32 v2, v5
	v_mov_b32_e32 v10, v2
	;; [unrolled: 1-line block ×3, first 2 shown]
	s_waitcnt lgkmcnt(0)
	v_cmp_lt_u64_e64 s0, s[10:11], 2
	s_and_b32 vcc_lo, exec_lo, s0
	s_cbranch_vccnz .LBB0_8
; %bb.1:
	s_load_dwordx2 s[0:1], s[4:5], 0x10
	v_mov_b32_e32 v3, 0
	v_mov_b32_e32 v8, v2
	s_add_u32 s6, s12, 8
	v_mov_b32_e32 v4, 0
	v_mov_b32_e32 v7, v1
	s_addc_u32 s7, s13, 0
	s_mov_b64 s[16:17], 1
	s_waitcnt lgkmcnt(0)
	s_add_u32 s14, s0, 8
	s_addc_u32 s15, s1, 0
.LBB0_2:                                ; =>This Inner Loop Header: Depth=1
	s_load_dwordx2 s[18:19], s[14:15], 0x0
                                        ; implicit-def: $vgpr9_vgpr10
	s_mov_b32 s0, exec_lo
	s_waitcnt lgkmcnt(0)
	v_or_b32_e32 v6, s19, v8
	v_cmpx_ne_u64_e32 0, v[5:6]
	s_xor_b32 s1, exec_lo, s0
	s_cbranch_execz .LBB0_4
; %bb.3:                                ;   in Loop: Header=BB0_2 Depth=1
	v_cvt_f32_u32_e32 v2, s18
	v_cvt_f32_u32_e32 v6, s19
	s_sub_u32 s0, 0, s18
	s_subb_u32 s20, 0, s19
	v_fmac_f32_e32 v2, 0x4f800000, v6
	v_rcp_f32_e32 v2, v2
	v_mul_f32_e32 v2, 0x5f7ffffc, v2
	v_mul_f32_e32 v6, 0x2f800000, v2
	v_trunc_f32_e32 v6, v6
	v_fmac_f32_e32 v2, 0xcf800000, v6
	v_cvt_u32_f32_e32 v6, v6
	v_cvt_u32_f32_e32 v2, v2
	v_mul_lo_u32 v9, s0, v6
	v_mul_hi_u32 v10, s0, v2
	v_mul_lo_u32 v11, s20, v2
	v_add_nc_u32_e32 v9, v10, v9
	v_mul_lo_u32 v10, s0, v2
	v_add_nc_u32_e32 v9, v9, v11
	v_mul_hi_u32 v11, v2, v10
	v_mul_lo_u32 v12, v2, v9
	v_mul_hi_u32 v13, v2, v9
	v_mul_hi_u32 v14, v6, v10
	v_mul_lo_u32 v10, v6, v10
	v_mul_hi_u32 v15, v6, v9
	v_mul_lo_u32 v9, v6, v9
	v_add_co_u32 v11, vcc_lo, v11, v12
	v_add_co_ci_u32_e32 v12, vcc_lo, 0, v13, vcc_lo
	v_add_co_u32 v10, vcc_lo, v11, v10
	v_add_co_ci_u32_e32 v10, vcc_lo, v12, v14, vcc_lo
	v_add_co_ci_u32_e32 v11, vcc_lo, 0, v15, vcc_lo
	v_add_co_u32 v9, vcc_lo, v10, v9
	v_add_co_ci_u32_e32 v10, vcc_lo, 0, v11, vcc_lo
	v_add_co_u32 v2, vcc_lo, v2, v9
	v_add_co_ci_u32_e32 v6, vcc_lo, v6, v10, vcc_lo
	v_mul_hi_u32 v9, s0, v2
	v_mul_lo_u32 v11, s20, v2
	v_mul_lo_u32 v10, s0, v6
	v_add_nc_u32_e32 v9, v9, v10
	v_mul_lo_u32 v10, s0, v2
	v_add_nc_u32_e32 v9, v9, v11
	v_mul_hi_u32 v11, v2, v10
	v_mul_lo_u32 v12, v2, v9
	v_mul_hi_u32 v13, v2, v9
	v_mul_hi_u32 v14, v6, v10
	v_mul_lo_u32 v10, v6, v10
	v_mul_hi_u32 v15, v6, v9
	v_mul_lo_u32 v9, v6, v9
	v_add_co_u32 v11, vcc_lo, v11, v12
	v_add_co_ci_u32_e32 v12, vcc_lo, 0, v13, vcc_lo
	v_add_co_u32 v10, vcc_lo, v11, v10
	v_add_co_ci_u32_e32 v10, vcc_lo, v12, v14, vcc_lo
	v_add_co_ci_u32_e32 v11, vcc_lo, 0, v15, vcc_lo
	v_add_co_u32 v9, vcc_lo, v10, v9
	v_add_co_ci_u32_e32 v10, vcc_lo, 0, v11, vcc_lo
	v_add_co_u32 v2, vcc_lo, v2, v9
	v_add_co_ci_u32_e32 v6, vcc_lo, v6, v10, vcc_lo
	v_mul_hi_u32 v15, v7, v2
	v_mad_u64_u32 v[11:12], null, v8, v2, 0
	v_mad_u64_u32 v[9:10], null, v7, v6, 0
	v_mad_u64_u32 v[13:14], null, v8, v6, 0
	v_add_co_u32 v2, vcc_lo, v15, v9
	v_add_co_ci_u32_e32 v6, vcc_lo, 0, v10, vcc_lo
	v_add_co_u32 v2, vcc_lo, v2, v11
	v_add_co_ci_u32_e32 v2, vcc_lo, v6, v12, vcc_lo
	v_add_co_ci_u32_e32 v6, vcc_lo, 0, v14, vcc_lo
	v_add_co_u32 v2, vcc_lo, v2, v13
	v_add_co_ci_u32_e32 v6, vcc_lo, 0, v6, vcc_lo
	v_mul_lo_u32 v11, s19, v2
	v_mad_u64_u32 v[9:10], null, s18, v2, 0
	v_mul_lo_u32 v12, s18, v6
	v_sub_co_u32 v9, vcc_lo, v7, v9
	v_add3_u32 v10, v10, v12, v11
	v_sub_nc_u32_e32 v11, v8, v10
	v_subrev_co_ci_u32_e64 v11, s0, s19, v11, vcc_lo
	v_add_co_u32 v12, s0, v2, 2
	v_add_co_ci_u32_e64 v13, s0, 0, v6, s0
	v_sub_co_u32 v14, s0, v9, s18
	v_sub_co_ci_u32_e32 v10, vcc_lo, v8, v10, vcc_lo
	v_subrev_co_ci_u32_e64 v11, s0, 0, v11, s0
	v_cmp_le_u32_e32 vcc_lo, s18, v14
	v_cmp_eq_u32_e64 s0, s19, v10
	v_cndmask_b32_e64 v14, 0, -1, vcc_lo
	v_cmp_le_u32_e32 vcc_lo, s19, v11
	v_cndmask_b32_e64 v15, 0, -1, vcc_lo
	v_cmp_le_u32_e32 vcc_lo, s18, v9
	;; [unrolled: 2-line block ×3, first 2 shown]
	v_cndmask_b32_e64 v16, 0, -1, vcc_lo
	v_cmp_eq_u32_e32 vcc_lo, s19, v11
	v_cndmask_b32_e64 v9, v16, v9, s0
	v_cndmask_b32_e32 v11, v15, v14, vcc_lo
	v_add_co_u32 v14, vcc_lo, v2, 1
	v_add_co_ci_u32_e32 v15, vcc_lo, 0, v6, vcc_lo
	v_cmp_ne_u32_e32 vcc_lo, 0, v11
	v_cndmask_b32_e32 v10, v15, v13, vcc_lo
	v_cndmask_b32_e32 v11, v14, v12, vcc_lo
	v_cmp_ne_u32_e32 vcc_lo, 0, v9
	v_cndmask_b32_e32 v10, v6, v10, vcc_lo
	v_cndmask_b32_e32 v9, v2, v11, vcc_lo
.LBB0_4:                                ;   in Loop: Header=BB0_2 Depth=1
	s_andn2_saveexec_b32 s0, s1
	s_cbranch_execz .LBB0_6
; %bb.5:                                ;   in Loop: Header=BB0_2 Depth=1
	v_cvt_f32_u32_e32 v2, s18
	s_sub_i32 s1, 0, s18
	v_rcp_iflag_f32_e32 v2, v2
	v_mul_f32_e32 v2, 0x4f7ffffe, v2
	v_cvt_u32_f32_e32 v2, v2
	v_mul_lo_u32 v6, s1, v2
	v_mul_hi_u32 v6, v2, v6
	v_add_nc_u32_e32 v2, v2, v6
	v_mul_hi_u32 v2, v7, v2
	v_mul_lo_u32 v6, v2, s18
	v_add_nc_u32_e32 v9, 1, v2
	v_sub_nc_u32_e32 v6, v7, v6
	v_subrev_nc_u32_e32 v10, s18, v6
	v_cmp_le_u32_e32 vcc_lo, s18, v6
	v_cndmask_b32_e32 v6, v6, v10, vcc_lo
	v_cndmask_b32_e32 v2, v2, v9, vcc_lo
	v_mov_b32_e32 v10, v5
	v_cmp_le_u32_e32 vcc_lo, s18, v6
	v_add_nc_u32_e32 v9, 1, v2
	v_cndmask_b32_e32 v9, v2, v9, vcc_lo
.LBB0_6:                                ;   in Loop: Header=BB0_2 Depth=1
	s_or_b32 exec_lo, exec_lo, s0
	s_load_dwordx2 s[0:1], s[6:7], 0x0
	v_mul_lo_u32 v2, v10, s18
	v_mul_lo_u32 v6, v9, s19
	v_mad_u64_u32 v[11:12], null, v9, s18, 0
	s_add_u32 s16, s16, 1
	s_addc_u32 s17, s17, 0
	s_add_u32 s6, s6, 8
	s_addc_u32 s7, s7, 0
	;; [unrolled: 2-line block ×3, first 2 shown]
	v_add3_u32 v2, v12, v6, v2
	v_sub_co_u32 v6, vcc_lo, v7, v11
	v_sub_co_ci_u32_e32 v2, vcc_lo, v8, v2, vcc_lo
	s_waitcnt lgkmcnt(0)
	v_mul_lo_u32 v7, s1, v6
	v_mul_lo_u32 v2, s0, v2
	v_mad_u64_u32 v[3:4], null, s0, v6, v[3:4]
	v_cmp_ge_u64_e64 s0, s[16:17], s[10:11]
	s_and_b32 vcc_lo, exec_lo, s0
	v_add3_u32 v4, v7, v4, v2
	s_cbranch_vccnz .LBB0_8
; %bb.7:                                ;   in Loop: Header=BB0_2 Depth=1
	v_mov_b32_e32 v7, v9
	v_mov_b32_e32 v8, v10
	s_branch .LBB0_2
.LBB0_8:
	s_lshl_b64 s[0:1], s[10:11], 3
	v_mul_hi_u32 v2, 0xaaaaaaab, v1
	s_add_u32 s0, s12, s0
	s_addc_u32 s1, s13, s1
	s_load_dwordx2 s[4:5], s[4:5], 0x20
	s_load_dwordx2 s[0:1], s[0:1], 0x0
	v_mul_hi_u32 v5, 0x3c3c3c4, v0
	v_lshrrev_b32_e32 v2, 1, v2
	v_lshl_add_u32 v6, v2, 1, v2
	v_sub_nc_u32_e32 v1, v1, v6
	s_waitcnt lgkmcnt(0)
	v_cmp_gt_u64_e32 vcc_lo, s[4:5], v[9:10]
	v_mul_lo_u32 v7, s0, v10
	v_mul_lo_u32 v8, s1, v9
	v_mad_u64_u32 v[2:3], null, s0, v9, v[3:4]
	v_mul_u32_u24_e32 v4, 0x44, v5
	v_mul_u32_u24_e32 v1, 0x375, v1
	v_sub_nc_u32_e32 v68, v0, v4
	v_add3_u32 v3, v8, v3, v7
	v_lshlrev_b32_e32 v64, 4, v1
	v_lshlrev_b64 v[70:71], 4, v[2:3]
	s_and_saveexec_b32 s1, vcc_lo
	s_cbranch_execz .LBB0_12
; %bb.9:
	v_mov_b32_e32 v69, 0
	v_add_co_u32 v0, s0, s2, v70
	v_add_co_ci_u32_e64 v2, s0, s3, v71, s0
	v_lshlrev_b64 v[3:4], 4, v[68:69]
	s_mov_b32 s4, exec_lo
	v_add_co_u32 v36, s0, v0, v3
	v_add_co_ci_u32_e64 v37, s0, v2, v4, s0
	v_lshlrev_b32_e32 v3, 4, v68
	v_add_co_u32 v16, s0, 0x800, v36
	v_add_co_ci_u32_e64 v17, s0, 0, v37, s0
	v_add_co_u32 v24, s0, 0x1000, v36
	v_add_co_ci_u32_e64 v25, s0, 0, v37, s0
	;; [unrolled: 2-line block ×6, first 2 shown]
	s_clause 0xc
	global_load_dwordx4 v[4:7], v[36:37], off
	global_load_dwordx4 v[8:11], v[36:37], off offset:1088
	global_load_dwordx4 v[12:15], v[16:17], off offset:128
	;; [unrolled: 1-line block ×12, first 2 shown]
	v_add3_u32 v3, 0, v64, v3
	s_waitcnt vmcnt(12)
	ds_write_b128 v3, v[4:7]
	s_waitcnt vmcnt(11)
	ds_write_b128 v3, v[8:11] offset:1088
	s_waitcnt vmcnt(10)
	ds_write_b128 v3, v[12:15] offset:2176
	;; [unrolled: 2-line block ×12, first 2 shown]
	v_cmpx_eq_u32_e32 0x43, v68
	s_cbranch_execz .LBB0_11
; %bb.10:
	v_add_co_u32 v4, s0, 0x3000, v0
	v_add_co_ci_u32_e64 v5, s0, 0, v2, s0
	v_mov_b32_e32 v68, 0x43
	global_load_dwordx4 v[4:7], v[4:5], off offset:1856
	s_waitcnt vmcnt(0)
	ds_write_b128 v3, v[4:7] offset:13072
.LBB0_11:
	s_or_b32 exec_lo, exec_lo, s4
.LBB0_12:
	s_or_b32 exec_lo, exec_lo, s1
	v_lshl_add_u32 v198, v1, 4, 0
	v_lshlrev_b32_e32 v72, 4, v68
	s_waitcnt lgkmcnt(0)
	s_barrier
	buffer_gl0_inv
	s_add_u32 s1, s8, 0x3670
	v_add_nc_u32_e32 v199, v198, v72
	v_sub_nc_u32_e32 v10, v198, v72
	s_addc_u32 s4, s9, 0
	s_mov_b32 s5, exec_lo
	ds_read_b64 v[6:7], v199
	ds_read_b64 v[8:9], v10 offset:14144
                                        ; implicit-def: $vgpr4_vgpr5
	s_waitcnt lgkmcnt(0)
	v_add_f64 v[0:1], v[6:7], v[8:9]
	v_add_f64 v[2:3], v[6:7], -v[8:9]
	v_cmpx_ne_u32_e32 0, v68
	s_xor_b32 s5, exec_lo, s5
	s_cbranch_execz .LBB0_14
; %bb.13:
	v_mov_b32_e32 v69, 0
	v_add_f64 v[13:14], v[6:7], v[8:9]
	v_add_f64 v[15:16], v[6:7], -v[8:9]
	v_lshlrev_b64 v[0:1], 4, v[68:69]
	v_add_co_u32 v0, s0, s1, v0
	v_add_co_ci_u32_e64 v1, s0, s4, v1, s0
	global_load_dwordx4 v[2:5], v[0:1], off
	ds_read_b64 v[0:1], v10 offset:14152
	ds_read_b64 v[11:12], v199 offset:8
	s_waitcnt lgkmcnt(0)
	v_add_f64 v[6:7], v[0:1], v[11:12]
	v_add_f64 v[0:1], v[11:12], -v[0:1]
	s_waitcnt vmcnt(0)
	v_fma_f64 v[8:9], v[15:16], v[4:5], v[13:14]
	v_fma_f64 v[11:12], -v[15:16], v[4:5], v[13:14]
	v_fma_f64 v[13:14], v[6:7], v[4:5], -v[0:1]
	v_fma_f64 v[4:5], v[6:7], v[4:5], v[0:1]
	v_fma_f64 v[0:1], -v[6:7], v[2:3], v[8:9]
	v_fma_f64 v[6:7], v[6:7], v[2:3], v[11:12]
	v_fma_f64 v[8:9], v[15:16], v[2:3], v[13:14]
	;; [unrolled: 1-line block ×3, first 2 shown]
	v_mov_b32_e32 v4, v68
	v_mov_b32_e32 v5, v69
	ds_write_b128 v10, v[6:9] offset:14144
.LBB0_14:
	s_andn2_saveexec_b32 s0, s5
	s_cbranch_execz .LBB0_16
; %bb.15:
	ds_read_b128 v[4:7], v198 offset:7072
	s_waitcnt lgkmcnt(0)
	v_add_f64 v[11:12], v[4:5], v[4:5]
	v_mul_f64 v[13:14], v[6:7], -2.0
	v_mov_b32_e32 v4, 0
	v_mov_b32_e32 v5, 0
	ds_write_b128 v198, v[11:14] offset:7072
.LBB0_16:
	s_or_b32 exec_lo, exec_lo, s0
	v_lshlrev_b64 v[4:5], 4, v[4:5]
	v_add_co_u32 v4, s0, s1, v4
	v_add_co_ci_u32_e64 v5, s0, s4, v5, s0
	s_mov_b32 s1, exec_lo
	v_add_co_u32 v15, s0, 0x800, v4
	global_load_dwordx4 v[6:9], v[4:5], off offset:1088
	v_add_co_ci_u32_e64 v16, s0, 0, v5, s0
	v_add_co_u32 v27, s0, 0x1000, v4
	s_clause 0x1
	global_load_dwordx4 v[11:14], v[15:16], off offset:128
	global_load_dwordx4 v[15:18], v[15:16], off offset:1216
	v_add_co_ci_u32_e64 v28, s0, 0, v5, s0
	ds_write_b128 v199, v[0:3]
	ds_read_b128 v[0:3], v199 offset:1088
	ds_read_b128 v[19:22], v10 offset:13056
	global_load_dwordx4 v[23:26], v[27:28], off offset:256
	s_waitcnt lgkmcnt(0)
	v_add_f64 v[29:30], v[0:1], v[19:20]
	v_add_f64 v[31:32], v[21:22], v[2:3]
	v_add_f64 v[33:34], v[0:1], -v[19:20]
	v_add_f64 v[0:1], v[2:3], -v[21:22]
	s_waitcnt vmcnt(3)
	v_fma_f64 v[2:3], v[33:34], v[8:9], v[29:30]
	v_fma_f64 v[19:20], v[31:32], v[8:9], v[0:1]
	v_fma_f64 v[21:22], -v[33:34], v[8:9], v[29:30]
	v_fma_f64 v[8:9], v[31:32], v[8:9], -v[0:1]
	v_fma_f64 v[0:1], -v[31:32], v[6:7], v[2:3]
	v_fma_f64 v[2:3], v[33:34], v[6:7], v[19:20]
	v_fma_f64 v[19:20], v[31:32], v[6:7], v[21:22]
	;; [unrolled: 1-line block ×3, first 2 shown]
	ds_write_b128 v199, v[0:3] offset:1088
	ds_write_b128 v10, v[19:22] offset:13056
	ds_read_b128 v[0:3], v199 offset:2176
	ds_read_b128 v[6:9], v10 offset:11968
	global_load_dwordx4 v[19:22], v[27:28], off offset:1344
	s_waitcnt lgkmcnt(0)
	v_add_f64 v[27:28], v[0:1], v[6:7]
	v_add_f64 v[29:30], v[8:9], v[2:3]
	v_add_f64 v[31:32], v[0:1], -v[6:7]
	v_add_f64 v[0:1], v[2:3], -v[8:9]
	s_waitcnt vmcnt(3)
	v_fma_f64 v[2:3], v[31:32], v[13:14], v[27:28]
	v_fma_f64 v[6:7], v[29:30], v[13:14], v[0:1]
	v_fma_f64 v[8:9], -v[31:32], v[13:14], v[27:28]
	v_fma_f64 v[13:14], v[29:30], v[13:14], -v[0:1]
	v_fma_f64 v[0:1], -v[29:30], v[11:12], v[2:3]
	v_fma_f64 v[2:3], v[31:32], v[11:12], v[6:7]
	v_fma_f64 v[6:7], v[29:30], v[11:12], v[8:9]
	v_fma_f64 v[8:9], v[31:32], v[11:12], v[13:14]
	ds_write_b128 v199, v[0:3] offset:2176
	ds_write_b128 v10, v[6:9] offset:11968
	ds_read_b128 v[0:3], v199 offset:3264
	ds_read_b128 v[6:9], v10 offset:10880
	s_waitcnt lgkmcnt(0)
	v_add_f64 v[11:12], v[0:1], v[6:7]
	v_add_f64 v[13:14], v[8:9], v[2:3]
	v_add_f64 v[27:28], v[0:1], -v[6:7]
	v_add_f64 v[0:1], v[2:3], -v[8:9]
	s_waitcnt vmcnt(2)
	v_fma_f64 v[2:3], v[27:28], v[17:18], v[11:12]
	v_fma_f64 v[6:7], v[13:14], v[17:18], v[0:1]
	v_fma_f64 v[8:9], -v[27:28], v[17:18], v[11:12]
	v_fma_f64 v[11:12], v[13:14], v[17:18], -v[0:1]
	v_fma_f64 v[0:1], -v[13:14], v[15:16], v[2:3]
	v_fma_f64 v[2:3], v[27:28], v[15:16], v[6:7]
	v_fma_f64 v[6:7], v[13:14], v[15:16], v[8:9]
	v_fma_f64 v[8:9], v[27:28], v[15:16], v[11:12]
	ds_write_b128 v199, v[0:3] offset:3264
	ds_write_b128 v10, v[6:9] offset:10880
	ds_read_b128 v[0:3], v199 offset:4352
	ds_read_b128 v[6:9], v10 offset:9792
	;; [unrolled: 18-line block ×3, first 2 shown]
	s_waitcnt lgkmcnt(0)
	v_add_f64 v[11:12], v[0:1], v[6:7]
	v_add_f64 v[13:14], v[8:9], v[2:3]
	v_add_f64 v[15:16], v[0:1], -v[6:7]
	v_add_f64 v[0:1], v[2:3], -v[8:9]
	s_waitcnt vmcnt(0)
	v_fma_f64 v[2:3], v[15:16], v[21:22], v[11:12]
	v_fma_f64 v[6:7], v[13:14], v[21:22], v[0:1]
	v_fma_f64 v[8:9], -v[15:16], v[21:22], v[11:12]
	v_fma_f64 v[11:12], v[13:14], v[21:22], -v[0:1]
	v_fma_f64 v[0:1], -v[13:14], v[19:20], v[2:3]
	v_fma_f64 v[2:3], v[15:16], v[19:20], v[6:7]
	v_fma_f64 v[6:7], v[13:14], v[19:20], v[8:9]
	;; [unrolled: 1-line block ×3, first 2 shown]
	ds_write_b128 v199, v[0:3] offset:5440
	ds_write_b128 v10, v[6:9] offset:8704
	v_cmpx_gt_u32_e32 34, v68
	s_cbranch_execz .LBB0_18
; %bb.17:
	v_add_co_u32 v0, s0, 0x1800, v4
	v_add_co_ci_u32_e64 v1, s0, 0, v5, s0
	global_load_dwordx4 v[0:3], v[0:1], off offset:384
	ds_read_b128 v[4:7], v199 offset:6528
	ds_read_b128 v[11:14], v10 offset:7616
	s_waitcnt lgkmcnt(0)
	v_add_f64 v[8:9], v[4:5], v[11:12]
	v_add_f64 v[15:16], v[13:14], v[6:7]
	v_add_f64 v[11:12], v[4:5], -v[11:12]
	v_add_f64 v[4:5], v[6:7], -v[13:14]
	s_waitcnt vmcnt(0)
	v_fma_f64 v[6:7], v[11:12], v[2:3], v[8:9]
	v_fma_f64 v[13:14], v[15:16], v[2:3], v[4:5]
	v_fma_f64 v[8:9], -v[11:12], v[2:3], v[8:9]
	v_fma_f64 v[17:18], v[15:16], v[2:3], -v[4:5]
	v_fma_f64 v[2:3], -v[15:16], v[0:1], v[6:7]
	v_fma_f64 v[4:5], v[11:12], v[0:1], v[13:14]
	v_fma_f64 v[6:7], v[15:16], v[0:1], v[8:9]
	;; [unrolled: 1-line block ×3, first 2 shown]
	ds_write_b128 v199, v[2:5] offset:6528
	ds_write_b128 v10, v[6:9] offset:7616
.LBB0_18:
	s_or_b32 exec_lo, exec_lo, s1
	v_add3_u32 v69, 0, v72, v64
	s_waitcnt lgkmcnt(0)
	s_barrier
	buffer_gl0_inv
	s_barrier
	buffer_gl0_inv
	ds_read_b128 v[0:3], v199
	ds_read_b128 v[4:7], v69 offset:1088
	ds_read_b128 v[36:39], v69 offset:2176
	;; [unrolled: 1-line block ×12, first 2 shown]
	s_mov_b32 s15, 0xbfddbe06
	s_mov_b32 s14, 0x4267c47c
	;; [unrolled: 1-line block ×12, first 2 shown]
	s_waitcnt lgkmcnt(11)
	v_add_f64 v[8:9], v[0:1], v[4:5]
	v_add_f64 v[10:11], v[2:3], v[6:7]
	s_waitcnt lgkmcnt(7)
	v_add_f64 v[20:21], v[48:49], v[44:45]
	v_add_f64 v[22:23], v[50:51], v[46:47]
	v_add_f64 v[28:29], v[48:49], -v[44:45]
	v_add_f64 v[30:31], v[50:51], -v[46:47]
	s_waitcnt lgkmcnt(5)
	v_add_f64 v[65:66], v[6:7], -v[58:59]
	v_add_f64 v[89:90], v[4:5], -v[56:57]
	s_waitcnt lgkmcnt(0)
	v_add_f64 v[95:96], v[38:39], -v[87:88]
	v_add_f64 v[97:98], v[36:37], -v[85:86]
	v_add_f64 v[99:100], v[36:37], v[85:86]
	v_add_f64 v[101:102], v[38:39], v[87:88]
	s_mov_b32 s27, 0xbfcea1e5
	s_mov_b32 s1, 0x3fec55a7
	;; [unrolled: 1-line block ×10, first 2 shown]
	v_add_f64 v[32:33], v[8:9], v[36:37]
	v_add_f64 v[34:35], v[10:11], v[38:39]
	;; [unrolled: 1-line block ×4, first 2 shown]
	s_mov_b32 s17, 0xbfe7f3cc
	s_mov_b32 s19, 0xbfef11f4
	v_mul_f64 v[103:104], v[65:66], s[14:15]
	v_mul_f64 v[113:114], v[89:90], s[14:15]
	;; [unrolled: 1-line block ×8, first 2 shown]
	v_add_f64 v[24:25], v[52:53], -v[40:41]
	v_add_f64 v[26:27], v[54:55], -v[42:43]
	v_add_f64 v[8:9], v[60:61], v[73:74]
	v_add_f64 v[10:11], v[62:63], v[75:76]
	v_add_f64 v[16:17], v[60:61], -v[73:74]
	v_add_f64 v[18:19], v[62:63], -v[75:76]
	v_mul_f64 v[115:116], v[89:90], s[22:23]
	v_mul_f64 v[117:118], v[89:90], s[28:29]
	v_add_f64 v[91:92], v[32:33], v[77:78]
	v_add_f64 v[93:94], v[34:35], v[79:80]
	;; [unrolled: 1-line block ×4, first 2 shown]
	v_add_f64 v[79:80], v[79:80], -v[83:84]
	v_add_f64 v[77:78], v[77:78], -v[81:82]
	v_fma_f64 v[179:180], v[36:37], s[0:1], -v[103:104]
	v_fma_f64 v[181:182], v[38:39], s[0:1], v[113:114]
	v_mul_f64 v[119:120], v[89:90], s[12:13]
	v_mul_f64 v[139:140], v[95:96], s[12:13]
	v_fma_f64 v[103:104], v[36:37], s[0:1], v[103:104]
	v_fma_f64 v[183:184], v[36:37], s[6:7], -v[109:110]
	v_fma_f64 v[109:110], v[36:37], s[6:7], v[109:110]
	v_fma_f64 v[185:186], v[36:37], s[16:17], -v[111:112]
	;; [unrolled: 2-line block ×3, first 2 shown]
	v_fma_f64 v[195:196], v[101:102], s[10:11], v[121:122]
	v_add_f64 v[12:13], v[52:53], v[40:41]
	v_add_f64 v[14:15], v[54:55], v[42:43]
	v_mul_f64 v[127:128], v[30:31], s[12:13]
	v_mul_f64 v[129:130], v[28:29], s[12:13]
	v_mul_f64 v[131:132], v[26:27], s[20:21]
	v_add_f64 v[48:49], v[91:92], v[48:49]
	v_add_f64 v[50:51], v[93:94], v[50:51]
	v_mul_f64 v[93:94], v[95:96], s[22:23]
	v_mul_f64 v[91:92], v[89:90], s[20:21]
	;; [unrolled: 1-line block ×5, first 2 shown]
	v_add_f64 v[179:180], v[0:1], v[179:180]
	v_add_f64 v[181:182], v[2:3], v[181:182]
	v_mul_f64 v[133:134], v[24:25], s[20:21]
	v_mul_f64 v[135:136], v[18:19], s[26:27]
	;; [unrolled: 1-line block ×4, first 2 shown]
	v_fma_f64 v[189:190], v[38:39], s[4:5], v[117:118]
	v_fma_f64 v[117:118], v[38:39], s[4:5], -v[117:118]
	v_fma_f64 v[191:192], v[38:39], s[6:7], v[119:120]
	v_fma_f64 v[121:122], v[101:102], s[10:11], -v[121:122]
	v_add_f64 v[103:104], v[0:1], v[103:104]
	s_mov_b32 s31, 0x3fe5384d
	s_mov_b32 s35, 0x3fedeba7
	s_mov_b32 s30, s20
	s_mov_b32 s34, s12
	v_add_f64 v[48:49], v[48:49], v[52:53]
	v_add_f64 v[50:51], v[50:51], v[54:55]
	v_fma_f64 v[193:194], v[99:100], s[10:11], -v[93:94]
	v_mul_f64 v[52:53], v[95:96], s[26:27]
	v_fma_f64 v[93:94], v[99:100], s[10:11], v[93:94]
	v_mul_f64 v[54:55], v[97:98], s[26:27]
	v_fma_f64 v[200:201], v[34:35], s[4:5], v[125:126]
	v_mul_f64 v[151:152], v[79:80], s[34:35]
	v_add_f64 v[181:182], v[195:196], v[181:182]
	v_mul_f64 v[159:160], v[95:96], s[30:31]
	v_mul_f64 v[161:162], v[97:98], s[30:31]
	v_fma_f64 v[202:203], v[20:21], s[6:7], -v[127:128]
	v_fma_f64 v[204:205], v[22:23], s[6:7], v[129:130]
	v_fma_f64 v[206:207], v[12:13], s[16:17], -v[131:132]
	v_fma_f64 v[208:209], v[14:15], s[16:17], v[133:134]
	;; [unrolled: 2-line block ×3, first 2 shown]
	s_mov_b32 s15, 0x3fddbe06
	v_mul_f64 v[153:154], v[77:78], s[34:35]
	v_mul_f64 v[171:172], v[30:31], s[14:15]
	;; [unrolled: 1-line block ×4, first 2 shown]
	v_add_f64 v[48:49], v[48:49], v[60:61]
	v_add_f64 v[50:51], v[50:51], v[62:63]
	v_fma_f64 v[60:61], v[36:37], s[10:11], -v[105:106]
	v_fma_f64 v[62:63], v[36:37], s[10:11], v[105:106]
	v_fma_f64 v[105:106], v[36:37], s[4:5], -v[107:108]
	v_fma_f64 v[107:108], v[36:37], s[4:5], v[107:108]
	v_fma_f64 v[36:37], v[36:37], s[18:19], v[65:66]
	v_fma_f64 v[65:66], v[38:39], s[0:1], -v[113:114]
	v_fma_f64 v[113:114], v[38:39], s[10:11], v[115:116]
	v_fma_f64 v[115:116], v[38:39], s[10:11], -v[115:116]
	v_add_f64 v[179:180], v[193:194], v[179:180]
	v_add_f64 v[93:94], v[93:94], v[103:104]
	;; [unrolled: 1-line block ×3, first 2 shown]
	v_fma_f64 v[181:182], v[99:100], s[16:17], -v[159:160]
	v_fma_f64 v[200:201], v[101:102], s[16:17], v[161:162]
	v_mul_f64 v[155:156], v[26:27], s[22:23]
	v_mul_f64 v[163:164], v[30:31], s[28:29]
	;; [unrolled: 1-line block ×3, first 2 shown]
	v_add_f64 v[189:190], v[2:3], v[189:190]
	v_mul_f64 v[157:158], v[24:25], s[22:23]
	v_fma_f64 v[159:160], v[99:100], s[16:17], v[159:160]
	v_add_f64 v[109:110], v[0:1], v[109:110]
	v_add_f64 v[48:49], v[48:49], v[73:74]
	;; [unrolled: 1-line block ×3, first 2 shown]
	v_fma_f64 v[73:74], v[38:39], s[6:7], -v[119:120]
	v_fma_f64 v[75:76], v[38:39], s[16:17], v[91:92]
	v_fma_f64 v[91:92], v[38:39], s[16:17], -v[91:92]
	v_fma_f64 v[119:120], v[38:39], s[18:19], v[89:90]
	v_fma_f64 v[38:39], v[38:39], s[18:19], -v[89:90]
	v_fma_f64 v[89:90], v[32:33], s[4:5], -v[123:124]
	v_add_f64 v[65:66], v[2:3], v[65:66]
	v_fma_f64 v[123:124], v[32:33], s[4:5], v[123:124]
	v_add_f64 v[113:114], v[2:3], v[113:114]
	v_add_f64 v[62:63], v[0:1], v[62:63]
	;; [unrolled: 1-line block ×3, first 2 shown]
	s_mov_b32 s25, 0x3fefc445
	s_mov_b32 s24, s28
	v_mul_f64 v[165:166], v[28:29], s[28:29]
	v_mul_f64 v[143:144], v[79:80], s[26:27]
	v_mul_f64 v[145:146], v[77:78], s[26:27]
	s_mov_b32 s27, 0x3fcea1e5
	v_mul_f64 v[147:148], v[30:31], s[30:31]
	v_mul_f64 v[149:150], v[28:29], s[30:31]
	v_add_f64 v[109:110], v[159:160], v[109:110]
	v_add_f64 v[40:41], v[48:49], v[40:41]
	;; [unrolled: 1-line block ×3, first 2 shown]
	v_fma_f64 v[48:49], v[99:100], s[6:7], -v[139:140]
	v_add_f64 v[50:51], v[0:1], v[60:61]
	v_fma_f64 v[60:61], v[34:35], s[4:5], -v[125:126]
	v_fma_f64 v[125:126], v[20:21], s[6:7], v[127:128]
	v_fma_f64 v[127:128], v[22:23], s[6:7], -v[129:130]
	v_fma_f64 v[129:130], v[12:13], s[16:17], v[131:132]
	;; [unrolled: 2-line block ×4, first 2 shown]
	v_add_f64 v[65:66], v[121:122], v[65:66]
	v_add_f64 v[89:90], v[89:90], v[179:180]
	v_fma_f64 v[121:122], v[32:33], s[6:7], -v[151:152]
	v_add_f64 v[93:94], v[123:124], v[93:94]
	v_add_f64 v[123:124], v[0:1], v[183:184]
	v_fma_f64 v[179:180], v[34:35], s[6:7], v[153:154]
	v_fma_f64 v[151:152], v[32:33], s[6:7], v[151:152]
	v_fma_f64 v[153:154], v[34:35], s[6:7], -v[153:154]
	v_add_f64 v[73:74], v[2:3], v[73:74]
	v_add_f64 v[119:120], v[2:3], v[119:120]
	;; [unrolled: 1-line block ×4, first 2 shown]
	v_fma_f64 v[44:45], v[99:100], s[18:19], -v[52:53]
	v_add_f64 v[46:47], v[48:49], v[50:51]
	v_add_f64 v[48:49], v[0:1], v[105:106]
	v_fma_f64 v[105:106], v[101:102], s[18:19], v[54:55]
	v_fma_f64 v[52:53], v[99:100], s[18:19], v[52:53]
	v_fma_f64 v[54:55], v[101:102], s[18:19], -v[54:55]
	v_fma_f64 v[193:194], v[32:33], s[18:19], -v[143:144]
	v_fma_f64 v[195:196], v[34:35], s[18:19], v[145:146]
	s_mov_b32 s29, 0x3fea55e2
	v_add_f64 v[113:114], v[137:138], v[113:114]
	v_add_f64 v[60:61], v[60:61], v[65:66]
	;; [unrolled: 1-line block ×6, first 2 shown]
	v_fma_f64 v[103:104], v[22:23], s[0:1], v[173:174]
	v_fma_f64 v[125:126], v[34:35], s[0:1], -v[177:178]
	s_mov_b32 s28, s22
	v_mul_f64 v[4:5], v[26:27], s[24:25]
	v_mul_f64 v[6:7], v[24:25], s[24:25]
	v_add_f64 v[40:41], v[40:41], v[81:82]
	v_add_f64 v[42:43], v[42:43], v[83:84]
	;; [unrolled: 1-line block ×3, first 2 shown]
	v_fma_f64 v[81:82], v[20:21], s[0:1], -v[171:172]
	v_add_f64 v[44:45], v[44:45], v[48:49]
	v_add_f64 v[48:49], v[0:1], v[107:108]
	v_fma_f64 v[107:108], v[32:33], s[0:1], -v[175:176]
	v_fma_f64 v[117:118], v[34:35], s[0:1], v[177:178]
	v_add_f64 v[105:106], v[105:106], v[189:190]
	v_fma_f64 v[214:215], v[20:21], s[16:17], -v[147:148]
	v_fma_f64 v[216:217], v[22:23], s[16:17], v[149:150]
	v_add_f64 v[46:47], v[193:194], v[46:47]
	v_add_f64 v[60:61], v[127:128], v[60:61]
	;; [unrolled: 1-line block ×4, first 2 shown]
	v_mul_f64 v[127:128], v[18:19], s[20:21]
	v_add_f64 v[93:94], v[129:130], v[93:94]
	v_mul_f64 v[129:130], v[16:17], s[20:21]
	v_add_f64 v[113:114], v[195:196], v[113:114]
	v_mul_f64 v[167:168], v[18:19], s[14:15]
	v_mul_f64 v[169:170], v[16:17], s[14:15]
	v_fma_f64 v[218:219], v[12:13], s[4:5], -v[4:5]
	v_add_f64 v[40:41], v[40:41], v[85:86]
	v_add_f64 v[42:43], v[42:43], v[87:88]
	;; [unrolled: 1-line block ×16, first 2 shown]
	v_fma_f64 v[65:66], v[22:23], s[0:1], -v[173:174]
	v_add_f64 v[105:106], v[179:180], v[105:106]
	v_mul_f64 v[121:122], v[24:25], s[26:27]
	v_add_f64 v[60:61], v[131:132], v[60:61]
	v_fma_f64 v[50:51], v[14:15], s[4:5], v[6:7]
	v_add_f64 v[46:47], v[214:215], v[46:47]
	v_add_f64 v[40:41], v[40:41], v[56:57]
	;; [unrolled: 1-line block ×3, first 2 shown]
	v_fma_f64 v[56:57], v[101:102], s[16:17], -v[161:162]
	v_fma_f64 v[58:59], v[20:21], s[0:1], v[171:172]
	v_add_f64 v[44:45], v[81:82], v[44:45]
	v_add_f64 v[48:49], v[151:152], v[48:49]
	;; [unrolled: 1-line block ×3, first 2 shown]
	v_fma_f64 v[81:82], v[12:13], s[10:11], -v[155:156]
	v_add_f64 v[87:88], v[107:108], v[87:88]
	v_add_f64 v[89:90], v[117:118], v[91:92]
	v_fma_f64 v[91:92], v[20:21], s[4:5], -v[163:164]
	v_fma_f64 v[107:108], v[22:23], s[4:5], v[165:166]
	v_mul_f64 v[117:118], v[26:27], s[26:27]
	v_fma_f64 v[151:152], v[8:9], s[16:17], -v[127:128]
	v_fma_f64 v[153:154], v[10:11], s[16:17], v[129:130]
	v_add_f64 v[113:114], v[216:217], v[113:114]
	v_mul_f64 v[137:138], v[16:17], s[28:29]
	v_add_f64 v[103:104], v[103:104], v[105:106]
	v_fma_f64 v[105:106], v[14:15], s[10:11], v[157:158]
	v_fma_f64 v[131:132], v[14:15], s[18:19], v[121:122]
	;; [unrolled: 1-line block ×3, first 2 shown]
	v_fma_f64 v[6:7], v[14:15], s[4:5], -v[6:7]
	v_add_f64 v[46:47], v[218:219], v[46:47]
	v_fma_f64 v[123:124], v[10:11], s[0:1], v[169:170]
	v_add_f64 v[56:57], v[56:57], v[73:74]
	v_fma_f64 v[73:74], v[32:33], s[0:1], v[175:176]
	v_add_f64 v[48:49], v[58:59], v[48:49]
	v_add_f64 v[52:53], v[65:66], v[52:53]
	v_fma_f64 v[58:59], v[12:13], s[10:11], v[155:156]
	v_fma_f64 v[65:66], v[14:15], s[10:11], -v[157:158]
	v_add_f64 v[44:45], v[81:82], v[44:45]
	v_add_f64 v[81:82], v[91:92], v[87:88]
	v_mul_f64 v[87:88], v[95:96], s[24:25]
	v_mul_f64 v[91:92], v[97:98], s[24:25]
	;; [unrolled: 1-line block ×8, first 2 shown]
	v_add_f64 v[89:90], v[107:108], v[89:90]
	v_fma_f64 v[107:108], v[12:13], s[18:19], -v[117:118]
	v_add_f64 v[103:104], v[105:106], v[103:104]
	v_mul_f64 v[105:106], v[18:19], s[28:29]
	v_add_f64 v[50:51], v[50:51], v[113:114]
	v_add_f64 v[56:57], v[125:126], v[56:57]
	;; [unrolled: 1-line block ×3, first 2 shown]
	v_fma_f64 v[109:110], v[20:21], s[4:5], v[163:164]
	v_fma_f64 v[125:126], v[22:23], s[4:5], -v[165:166]
	v_fma_f64 v[113:114], v[8:9], s[0:1], -v[167:168]
	v_add_f64 v[48:49], v[58:59], v[48:49]
	v_add_f64 v[52:53], v[65:66], v[52:53]
	v_fma_f64 v[58:59], v[8:9], s[16:17], v[127:128]
	v_fma_f64 v[65:66], v[10:11], s[16:17], -v[129:130]
	v_fma_f64 v[127:128], v[99:100], s[4:5], -v[87:88]
	v_fma_f64 v[129:130], v[101:102], s[4:5], v[91:92]
	v_fma_f64 v[87:88], v[99:100], s[4:5], v[87:88]
	v_fma_f64 v[91:92], v[101:102], s[4:5], -v[91:92]
	v_fma_f64 v[159:160], v[99:100], s[0:1], -v[95:96]
	v_fma_f64 v[161:162], v[101:102], s[0:1], v[97:98]
	v_fma_f64 v[95:96], v[99:100], s[0:1], v[95:96]
	v_fma_f64 v[97:98], v[101:102], s[0:1], -v[97:98]
	v_fma_f64 v[99:100], v[99:100], s[6:7], v[139:140]
	v_fma_f64 v[101:102], v[101:102], s[6:7], -v[141:142]
	v_fma_f64 v[139:140], v[32:33], s[16:17], -v[79:80]
	v_fma_f64 v[141:142], v[34:35], s[16:17], v[77:78]
	v_fma_f64 v[79:80], v[32:33], s[16:17], v[79:80]
	v_fma_f64 v[77:78], v[34:35], s[16:17], -v[77:78]
	v_add_f64 v[81:82], v[107:108], v[81:82]
	v_add_f64 v[73:74], v[109:110], v[73:74]
	;; [unrolled: 1-line block ×3, first 2 shown]
	v_fma_f64 v[109:110], v[12:13], s[18:19], v[117:118]
	v_fma_f64 v[117:118], v[14:15], s[18:19], -v[121:122]
	v_fma_f64 v[121:122], v[32:33], s[10:11], -v[155:156]
	v_fma_f64 v[125:126], v[34:35], s[10:11], v[157:158]
	v_add_f64 v[89:90], v[131:132], v[89:90]
	v_add_f64 v[85:86], v[127:128], v[85:86]
	;; [unrolled: 1-line block ×3, first 2 shown]
	v_mul_f64 v[127:128], v[30:31], s[26:27]
	v_mul_f64 v[129:130], v[28:29], s[26:27]
	v_add_f64 v[75:76], v[87:88], v[75:76]
	v_add_f64 v[83:84], v[91:92], v[83:84]
	v_fma_f64 v[87:88], v[32:33], s[10:11], v[155:156]
	v_fma_f64 v[91:92], v[34:35], s[10:11], -v[157:158]
	v_add_f64 v[111:112], v[159:160], v[111:112]
	v_add_f64 v[119:120], v[161:162], v[119:120]
	v_mul_f64 v[30:31], v[30:31], s[28:29]
	v_mul_f64 v[28:29], v[28:29], s[28:29]
	v_add_f64 v[0:1], v[95:96], v[0:1]
	v_add_f64 v[2:3], v[97:98], v[2:3]
	;; [unrolled: 1-line block ×4, first 2 shown]
	v_fma_f64 v[32:33], v[32:33], s[18:19], v[143:144]
	v_fma_f64 v[34:35], v[34:35], s[18:19], -v[145:146]
	v_mul_f64 v[101:102], v[26:27], s[14:15]
	v_mul_f64 v[115:116], v[24:25], s[14:15]
	;; [unrolled: 1-line block ×4, first 2 shown]
	v_add_f64 v[85:86], v[121:122], v[85:86]
	v_add_f64 v[54:55], v[125:126], v[54:55]
	v_fma_f64 v[97:98], v[20:21], s[18:19], -v[127:128]
	v_fma_f64 v[99:100], v[22:23], s[18:19], v[129:130]
	v_fma_f64 v[107:108], v[8:9], s[10:11], -v[105:106]
	v_fma_f64 v[131:132], v[10:11], s[10:11], v[137:138]
	v_add_f64 v[75:76], v[87:88], v[75:76]
	v_add_f64 v[83:84], v[91:92], v[83:84]
	v_fma_f64 v[87:88], v[20:21], s[18:19], v[127:128]
	v_fma_f64 v[91:92], v[22:23], s[18:19], -v[129:130]
	v_add_f64 v[111:112], v[139:140], v[111:112]
	v_add_f64 v[119:120], v[141:142], v[119:120]
	v_fma_f64 v[121:122], v[20:21], s[10:11], -v[30:31]
	v_fma_f64 v[125:126], v[22:23], s[10:11], v[28:29]
	v_add_f64 v[0:1], v[79:80], v[0:1]
	v_add_f64 v[2:3], v[77:78], v[2:3]
	v_fma_f64 v[30:31], v[20:21], s[10:11], v[30:31]
	v_fma_f64 v[28:29], v[22:23], s[10:11], -v[28:29]
	v_add_f64 v[32:33], v[32:33], v[62:63]
	v_add_f64 v[34:35], v[34:35], v[95:96]
	v_fma_f64 v[20:21], v[20:21], s[16:17], v[147:148]
	v_fma_f64 v[22:23], v[22:23], s[16:17], -v[149:150]
	v_fma_f64 v[77:78], v[12:13], s[0:1], -v[101:102]
	v_fma_f64 v[79:80], v[14:15], s[0:1], v[115:116]
	v_add_f64 v[62:63], v[97:98], v[85:86]
	v_add_f64 v[54:55], v[99:100], v[54:55]
	v_mul_f64 v[85:86], v[18:19], s[12:13]
	v_mul_f64 v[95:96], v[16:17], s[12:13]
	;; [unrolled: 1-line block ×4, first 2 shown]
	v_add_f64 v[75:76], v[87:88], v[75:76]
	v_add_f64 v[83:84], v[91:92], v[83:84]
	v_fma_f64 v[87:88], v[12:13], s[0:1], v[101:102]
	v_fma_f64 v[91:92], v[14:15], s[0:1], -v[115:116]
	v_add_f64 v[97:98], v[121:122], v[111:112]
	v_add_f64 v[99:100], v[125:126], v[119:120]
	v_fma_f64 v[101:102], v[12:13], s[6:7], -v[26:27]
	v_fma_f64 v[111:112], v[14:15], s[6:7], v[24:25]
	v_add_f64 v[0:1], v[30:31], v[0:1]
	v_add_f64 v[2:3], v[28:29], v[2:3]
	v_fma_f64 v[26:27], v[12:13], s[6:7], v[26:27]
	v_fma_f64 v[24:25], v[14:15], s[6:7], -v[24:25]
	v_add_f64 v[20:21], v[20:21], v[32:33]
	v_add_f64 v[22:23], v[22:23], v[34:35]
	v_fma_f64 v[30:31], v[8:9], s[10:11], v[105:106]
	v_add_f64 v[28:29], v[109:110], v[73:74]
	v_add_f64 v[32:33], v[77:78], v[62:63]
	;; [unrolled: 1-line block ×3, first 2 shown]
	v_fma_f64 v[54:55], v[8:9], s[6:7], -v[85:86]
	v_fma_f64 v[62:63], v[10:11], s[6:7], v[95:96]
	v_fma_f64 v[79:80], v[8:9], s[6:7], v[85:86]
	v_fma_f64 v[105:106], v[10:11], s[4:5], -v[16:17]
	v_add_f64 v[56:57], v[117:118], v[56:57]
	v_fma_f64 v[73:74], v[10:11], s[10:11], -v[137:138]
	v_add_f64 v[75:76], v[87:88], v[75:76]
	v_add_f64 v[77:78], v[91:92], v[83:84]
	v_fma_f64 v[83:84], v[10:11], s[6:7], -v[95:96]
	v_fma_f64 v[91:92], v[8:9], s[4:5], -v[18:19]
	v_add_f64 v[85:86], v[101:102], v[97:98]
	v_add_f64 v[87:88], v[111:112], v[99:100]
	v_fma_f64 v[95:96], v[10:11], s[4:5], v[16:17]
	v_fma_f64 v[101:102], v[8:9], s[4:5], v[18:19]
	v_add_f64 v[97:98], v[26:27], v[0:1]
	v_add_f64 v[99:100], v[24:25], v[2:3]
	;; [unrolled: 1-line block ×4, first 2 shown]
	v_fma_f64 v[115:116], v[8:9], s[0:1], v[167:168]
	v_fma_f64 v[117:118], v[10:11], s[0:1], -v[169:170]
	v_add_f64 v[4:5], v[113:114], v[46:47]
	v_add_f64 v[6:7], v[123:124], v[50:51]
	;; [unrolled: 1-line block ×22, first 2 shown]
	v_mul_u32_u24_e32 v52, 0xd0, v68
	s_barrier
	buffer_gl0_inv
	v_cmp_gt_u32_e64 s0, 17, v68
                                        ; implicit-def: $vgpr62_vgpr63
                                        ; implicit-def: $vgpr58_vgpr59
	v_add3_u32 v52, 0, v52, v64
	ds_write_b128 v52, v[40:43]
	ds_write_b128 v52, v[36:39] offset:16
	ds_write_b128 v52, v[4:7] offset:32
	;; [unrolled: 1-line block ×12, first 2 shown]
	s_waitcnt lgkmcnt(0)
	s_barrier
	buffer_gl0_inv
	ds_read_b128 v[8:11], v199
	ds_read_b128 v[4:7], v69 offset:1088
	ds_read_b128 v[40:43], v69 offset:7072
	ds_read_b128 v[16:19], v69 offset:8160
	ds_read_b128 v[44:47], v69 offset:3536
	ds_read_b128 v[12:15], v69 offset:2176
	ds_read_b128 v[32:35], v69 offset:4624
	ds_read_b128 v[20:23], v69 offset:5712
	ds_read_b128 v[52:55], v69 offset:10608
	ds_read_b128 v[24:27], v69 offset:9248
	ds_read_b128 v[36:39], v69 offset:11696
	ds_read_b128 v[28:31], v69 offset:12784
                                        ; implicit-def: $vgpr50_vgpr51
	s_and_saveexec_b32 s1, s0
	s_cbranch_execz .LBB0_20
; %bb.19:
	ds_read_b128 v[0:3], v69 offset:3264
	ds_read_b128 v[48:51], v69 offset:6800
	;; [unrolled: 1-line block ×4, first 2 shown]
.LBB0_20:
	s_or_b32 exec_lo, exec_lo, s1
	v_and_b32_e32 v66, 0xff, v68
	v_add_nc_u16 v67, v68, 0x44
	v_add_nc_u32_e32 v65, 0xcc, v68
	v_mov_b32_e32 v73, 0x4ec5
	v_add_nc_u16 v74, v68, 0x88
	v_mul_lo_u16 v66, 0x4f, v66
	v_and_b32_e32 v75, 0xff, v67
	v_mov_b32_e32 v81, 3
	v_lshrrev_b16 v145, 10, v66
	v_mul_u32_u24_sdwa v66, v65, v73 dst_sel:DWORD dst_unused:UNUSED_PAD src0_sel:WORD_0 src1_sel:DWORD
	v_and_b32_e32 v73, 0xff, v74
	v_mul_lo_u16 v75, 0x4f, v75
	v_mul_lo_u16 v76, v145, 13
	v_lshrrev_b32_e32 v66, 18, v66
	v_mul_lo_u16 v73, 0x4f, v73
	v_lshrrev_b16 v146, 10, v75
	v_sub_nc_u16 v147, v68, v76
	v_mul_lo_u16 v66, v66, 13
	v_lshrrev_b16 v148, 10, v73
	v_mul_lo_u16 v73, v146, 13
	v_mul_u32_u24_sdwa v75, v147, v81 dst_sel:DWORD dst_unused:UNUSED_PAD src0_sel:BYTE_0 src1_sel:DWORD
	v_sub_nc_u16 v66, v65, v66
	v_mul_lo_u16 v76, v148, 13
	v_sub_nc_u16 v149, v67, v73
	v_lshlrev_b32_e32 v67, 4, v75
	v_mul_u32_u24_sdwa v77, v66, v81 dst_sel:DWORD dst_unused:UNUSED_PAD src0_sel:WORD_0 src1_sel:DWORD
	v_sub_nc_u16 v150, v74, v76
	v_mul_u32_u24_sdwa v85, v149, v81 dst_sel:DWORD dst_unused:UNUSED_PAD src0_sel:BYTE_0 src1_sel:DWORD
	global_load_dwordx4 v[73:76], v67, s[8:9]
	v_lshlrev_b32_e32 v117, 4, v77
	global_load_dwordx4 v[77:80], v67, s[8:9] offset:16
	v_mul_u32_u24_sdwa v97, v150, v81 dst_sel:DWORD dst_unused:UNUSED_PAD src0_sel:BYTE_0 src1_sel:DWORD
	global_load_dwordx4 v[81:84], v67, s[8:9] offset:32
	v_lshlrev_b32_e32 v67, 4, v85
	s_clause 0x2
	global_load_dwordx4 v[85:88], v117, s[8:9] offset:16
	global_load_dwordx4 v[89:92], v117, s[8:9] offset:32
	global_load_dwordx4 v[93:96], v67, s[8:9]
	v_lshlrev_b32_e32 v113, 4, v97
	s_clause 0x5
	global_load_dwordx4 v[97:100], v67, s[8:9] offset:16
	global_load_dwordx4 v[101:104], v67, s[8:9] offset:32
	global_load_dwordx4 v[105:108], v113, s[8:9]
	global_load_dwordx4 v[109:112], v113, s[8:9] offset:16
	global_load_dwordx4 v[113:116], v113, s[8:9] offset:32
	global_load_dwordx4 v[117:120], v117, s[8:9]
	v_mov_b32_e32 v67, 4
	s_waitcnt vmcnt(0) lgkmcnt(0)
	s_barrier
	buffer_gl0_inv
	v_mul_f64 v[121:122], v[46:47], v[75:76]
	v_mul_f64 v[75:76], v[44:45], v[75:76]
	;; [unrolled: 1-line block ×24, first 2 shown]
	v_fma_f64 v[44:45], v[44:45], v[73:74], -v[121:122]
	v_fma_f64 v[46:47], v[46:47], v[73:74], v[75:76]
	v_fma_f64 v[40:41], v[40:41], v[77:78], -v[123:124]
	v_fma_f64 v[42:43], v[42:43], v[77:78], v[79:80]
	;; [unrolled: 2-line block ×4, first 2 shown]
	v_fma_f64 v[56:57], v[56:57], v[89:90], -v[129:130]
	v_fma_f64 v[32:33], v[32:33], v[93:94], -v[131:132]
	v_fma_f64 v[34:35], v[34:35], v[93:94], v[95:96]
	v_fma_f64 v[16:17], v[16:17], v[97:98], -v[133:134]
	v_fma_f64 v[18:19], v[18:19], v[97:98], v[99:100]
	;; [unrolled: 2-line block ×6, first 2 shown]
	v_fma_f64 v[58:59], v[58:59], v[89:90], v[91:92]
	v_fma_f64 v[48:49], v[48:49], v[117:118], -v[143:144]
	v_fma_f64 v[50:51], v[50:51], v[117:118], v[119:120]
	v_add_f64 v[73:74], v[8:9], -v[40:41]
	v_add_f64 v[75:76], v[10:11], -v[42:43]
	;; [unrolled: 1-line block ×6, first 2 shown]
	v_lshlrev_b32_sdwa v96, v67, v147 dst_sel:DWORD dst_unused:UNUSED_PAD src0_sel:DWORD src1_sel:BYTE_0
	v_lshlrev_b32_sdwa v99, v67, v149 dst_sel:DWORD dst_unused:UNUSED_PAD src0_sel:DWORD src1_sel:BYTE_0
	v_add_f64 v[60:61], v[4:5], -v[16:17]
	v_add_f64 v[79:80], v[6:7], -v[18:19]
	;; [unrolled: 1-line block ×10, first 2 shown]
	v_fma_f64 v[58:59], v[8:9], 2.0, -v[73:74]
	v_fma_f64 v[62:63], v[10:11], 2.0, -v[75:76]
	;; [unrolled: 1-line block ×10, first 2 shown]
	v_add_f64 v[4:5], v[73:74], -v[42:43]
	v_add_f64 v[6:7], v[75:76], v[40:41]
	v_fma_f64 v[89:90], v[12:13], 2.0, -v[81:82]
	v_fma_f64 v[91:92], v[14:15], 2.0, -v[83:84]
	;; [unrolled: 1-line block ×4, first 2 shown]
	v_add_f64 v[32:33], v[60:61], -v[18:19]
	v_fma_f64 v[2:3], v[48:49], 2.0, -v[54:55]
	v_fma_f64 v[48:49], v[50:51], 2.0, -v[36:37]
	v_add_f64 v[34:35], v[79:80], v[16:17]
	v_add_f64 v[28:29], v[81:82], -v[26:27]
	v_add_f64 v[30:31], v[83:84], v[24:25]
	v_add_f64 v[8:9], v[58:59], -v[8:9]
	v_add_f64 v[10:11], v[62:63], -v[10:11]
	;; [unrolled: 1-line block ×3, first 2 shown]
	v_add_f64 v[54:55], v[85:86], v[54:55]
	v_and_b32_e32 v50, 0xffff, v145
	v_and_b32_e32 v51, 0xffff, v146
	v_add_f64 v[12:13], v[46:47], -v[0:1]
	v_add_f64 v[14:15], v[87:88], -v[38:39]
	v_and_b32_e32 v0, 0xffff, v148
	v_mad_u32_u24 v95, 0x340, v50, 0
	v_mad_u32_u24 v97, 0x340, v51, 0
	v_fma_f64 v[16:17], v[73:74], 2.0, -v[4:5]
	v_add_f64 v[36:37], v[89:90], -v[20:21]
	v_add_f64 v[38:39], v[91:92], -v[22:23]
	v_mad_u32_u24 v98, 0x340, v0, 0
	v_add_f64 v[40:41], v[44:45], -v[2:3]
	v_add_f64 v[42:43], v[93:94], -v[48:49]
	v_fma_f64 v[18:19], v[75:76], 2.0, -v[6:7]
	v_fma_f64 v[24:25], v[60:61], 2.0, -v[32:33]
	;; [unrolled: 1-line block ×9, first 2 shown]
	v_lshlrev_b32_sdwa v73, v67, v150 dst_sel:DWORD dst_unused:UNUSED_PAD src0_sel:DWORD src1_sel:BYTE_0
	v_add3_u32 v74, v95, v96, v64
	v_fma_f64 v[20:21], v[46:47], 2.0, -v[12:13]
	v_fma_f64 v[22:23], v[87:88], 2.0, -v[14:15]
	v_add3_u32 v75, v97, v99, v64
	v_add3_u32 v73, v98, v73, v64
	v_fma_f64 v[60:61], v[89:90], 2.0, -v[36:37]
	v_fma_f64 v[62:63], v[91:92], 2.0, -v[38:39]
	ds_write_b128 v74, v[4:7] offset:624
	ds_write_b128 v74, v[16:19] offset:208
	ds_write_b128 v74, v[8:11] offset:416
	ds_write_b128 v74, v[0:3]
	ds_write_b128 v75, v[24:27] offset:208
	ds_write_b128 v75, v[12:15] offset:416
	;; [unrolled: 1-line block ×3, first 2 shown]
	ds_write_b128 v75, v[20:23]
	ds_write_b128 v73, v[60:63]
	ds_write_b128 v73, v[56:59] offset:208
	ds_write_b128 v73, v[36:39] offset:416
	;; [unrolled: 1-line block ×3, first 2 shown]
	v_fma_f64 v[44:45], v[44:45], 2.0, -v[40:41]
	v_fma_f64 v[46:47], v[93:94], 2.0, -v[42:43]
	s_and_saveexec_b32 s1, s0
	s_cbranch_execz .LBB0_22
; %bb.21:
	v_and_b32_e32 v65, 0xff, v65
	v_lshlrev_b32_sdwa v66, v67, v66 dst_sel:DWORD dst_unused:UNUSED_PAD src0_sel:DWORD src1_sel:WORD_0
	v_mul_lo_u16 v65, 0x4f, v65
	v_lshrrev_b16 v65, 10, v65
	v_and_b32_e32 v65, 0xffff, v65
	v_mad_u32_u24 v65, 0x340, v65, 0
	v_add3_u32 v64, v65, v66, v64
	ds_write_b128 v64, v[44:47]
	ds_write_b128 v64, v[48:51] offset:208
	ds_write_b128 v64, v[40:43] offset:416
	;; [unrolled: 1-line block ×3, first 2 shown]
.LBB0_22:
	s_or_b32 exec_lo, exec_lo, s1
	v_cmp_gt_u32_e64 s0, 52, v68
	s_waitcnt lgkmcnt(0)
	s_barrier
	buffer_gl0_inv
                                        ; implicit-def: $vgpr66_vgpr67
	s_and_saveexec_b32 s1, s0
	s_cbranch_execz .LBB0_24
; %bb.23:
	ds_read_b128 v[0:3], v199
	ds_read_b128 v[16:19], v69 offset:832
	ds_read_b128 v[8:11], v69 offset:1664
	;; [unrolled: 1-line block ×16, first 2 shown]
.LBB0_24:
	s_or_b32 exec_lo, exec_lo, s1
	s_waitcnt lgkmcnt(0)
	s_barrier
	buffer_gl0_inv
	s_and_saveexec_b32 s33, s0
	s_cbranch_execz .LBB0_26
; %bb.25:
	v_add_nc_u32_e32 v74, 0xfffffcc0, v72
	v_mov_b32_e32 v73, 0
	s_mov_b32 s30, 0x7faef3
	s_mov_b32 s34, 0xacd6c6b4
	;; [unrolled: 1-line block ×3, first 2 shown]
	v_cndmask_b32_e64 v72, v74, v72, s0
	s_mov_b32 s35, 0x3fc7851a
	s_mov_b32 s47, 0xbfc7851a
	;; [unrolled: 1-line block ×4, first 2 shown]
	v_lshlrev_b64 v[72:73], 4, v[72:73]
	s_mov_b32 s28, 0x5d8e7cdc
	s_mov_b32 s27, 0x3fedd6d0
	;; [unrolled: 1-line block ×5, first 2 shown]
	v_add_co_u32 v76, s0, s8, v72
	v_add_co_ci_u32_e64 v77, s0, s9, v73, s0
	s_mov_b32 s0, 0x3259b75e
	s_mov_b32 s6, 0xeb564b22
	;; [unrolled: 1-line block ×3, first 2 shown]
	s_clause 0xf
	global_load_dwordx4 v[72:75], v[76:77], off offset:736
	global_load_dwordx4 v[78:81], v[76:77], off offset:752
	;; [unrolled: 1-line block ×16, first 2 shown]
	s_mov_b32 s12, 0x923c349f
	s_mov_b32 s4, 0x2b2883cd
	;; [unrolled: 1-line block ×33, first 2 shown]
	s_waitcnt vmcnt(15)
	v_mul_f64 v[76:77], v[60:61], v[74:75]
	s_waitcnt vmcnt(14)
	v_mul_f64 v[138:139], v[56:57], v[80:81]
	v_mul_f64 v[80:81], v[58:59], v[80:81]
	;; [unrolled: 1-line block ×3, first 2 shown]
	s_waitcnt vmcnt(11)
	v_mul_f64 v[144:145], v[16:17], v[92:93]
	s_waitcnt vmcnt(10)
	v_mul_f64 v[146:147], v[64:65], v[96:97]
	v_mul_f64 v[140:141], v[32:33], v[84:85]
	;; [unrolled: 1-line block ×5, first 2 shown]
	s_waitcnt vmcnt(9)
	v_mul_f64 v[148:149], v[8:9], v[100:101]
	v_mul_f64 v[100:101], v[10:11], v[100:101]
	;; [unrolled: 1-line block ×4, first 2 shown]
	s_waitcnt vmcnt(8)
	v_mul_f64 v[150:151], v[52:53], v[104:105]
	v_mul_f64 v[104:105], v[54:55], v[104:105]
	s_waitcnt vmcnt(7)
	v_mul_f64 v[152:153], v[12:13], v[108:109]
	s_waitcnt vmcnt(6)
	v_mul_f64 v[154:155], v[28:29], v[112:113]
	v_mul_f64 v[108:109], v[14:15], v[108:109]
	;; [unrolled: 1-line block ×3, first 2 shown]
	s_waitcnt vmcnt(5)
	v_mul_f64 v[156:157], v[24:25], v[116:117]
	s_waitcnt vmcnt(4)
	v_mul_f64 v[158:159], v[44:45], v[120:121]
	v_fma_f64 v[76:77], v[62:63], v[72:73], v[76:77]
	v_mul_f64 v[116:117], v[26:27], v[116:117]
	v_fma_f64 v[62:63], v[56:57], v[78:79], -v[80:81]
	v_fma_f64 v[74:75], v[60:61], v[72:73], -v[74:75]
	v_fma_f64 v[18:19], v[18:19], v[90:91], v[144:145]
	v_fma_f64 v[56:57], v[66:67], v[94:95], v[146:147]
	s_waitcnt vmcnt(3)
	v_mul_f64 v[160:161], v[20:21], v[124:125]
	s_waitcnt vmcnt(2)
	v_mul_f64 v[162:163], v[4:5], v[128:129]
	s_waitcnt vmcnt(1)
	v_mul_f64 v[164:165], v[40:41], v[132:133]
	v_mul_f64 v[128:129], v[6:7], v[128:129]
	v_fma_f64 v[72:73], v[58:59], v[78:79], v[138:139]
	s_waitcnt vmcnt(0)
	v_mul_f64 v[138:139], v[48:49], v[136:137]
	v_mul_f64 v[124:125], v[22:23], v[124:125]
	v_mul_f64 v[136:137], v[50:51], v[136:137]
	v_fma_f64 v[66:67], v[32:33], v[82:83], -v[84:85]
	v_mul_f64 v[120:121], v[46:47], v[120:121]
	v_fma_f64 v[60:61], v[38:39], v[86:87], v[142:143]
	v_fma_f64 v[58:59], v[36:37], v[86:87], -v[88:89]
	v_fma_f64 v[86:87], v[10:11], v[98:99], v[148:149]
	v_fma_f64 v[16:17], v[16:17], v[90:91], -v[92:93]
	v_fma_f64 v[32:33], v[64:65], v[94:95], -v[96:97]
	;; [unrolled: 1-line block ×3, first 2 shown]
	v_fma_f64 v[36:37], v[54:55], v[102:103], v[150:151]
	v_mul_f64 v[132:133], v[42:43], v[132:133]
	v_fma_f64 v[78:79], v[34:35], v[82:83], v[140:141]
	v_fma_f64 v[34:35], v[52:53], v[102:103], -v[104:105]
	v_fma_f64 v[54:55], v[14:15], v[106:107], v[152:153]
	v_add_f64 v[8:9], v[18:19], v[56:57]
	v_add_f64 v[10:11], v[18:19], -v[56:57]
	v_fma_f64 v[52:53], v[30:31], v[110:111], v[154:155]
	v_fma_f64 v[82:83], v[6:7], v[126:127], v[162:163]
	;; [unrolled: 1-line block ×3, first 2 shown]
	v_fma_f64 v[80:81], v[4:5], v[126:127], -v[128:129]
	v_fma_f64 v[64:65], v[22:23], v[122:123], v[160:161]
	v_fma_f64 v[22:23], v[50:51], v[134:135], v[138:139]
	v_fma_f64 v[50:51], v[20:21], v[122:123], -v[124:125]
	v_fma_f64 v[20:21], v[48:49], v[134:135], -v[136:137]
	v_fma_f64 v[48:49], v[26:27], v[114:115], v[156:157]
	v_fma_f64 v[26:27], v[46:47], v[118:119], v[158:159]
	v_fma_f64 v[46:47], v[24:25], v[114:115], -v[116:117]
	v_fma_f64 v[24:25], v[44:45], v[118:119], -v[120:121]
	v_fma_f64 v[44:45], v[12:13], v[106:107], -v[108:109]
	v_fma_f64 v[28:29], v[28:29], v[110:111], -v[112:113]
	v_add_f64 v[6:7], v[16:17], -v[32:33]
	v_add_f64 v[4:5], v[16:17], v[32:33]
	v_add_f64 v[42:43], v[86:87], v[36:37]
	v_add_f64 v[110:111], v[86:87], -v[36:37]
	v_fma_f64 v[38:39], v[40:41], v[130:131], -v[132:133]
	v_add_f64 v[40:41], v[84:85], -v[34:35]
	v_mul_f64 v[12:13], v[8:9], s[30:31]
	v_mul_f64 v[14:15], v[10:11], s[46:47]
	v_add_f64 v[100:101], v[84:85], v[34:35]
	v_add_f64 v[150:151], v[2:3], v[18:19]
	;; [unrolled: 1-line block ×3, first 2 shown]
	v_add_f64 v[108:109], v[82:83], -v[30:31]
	v_add_f64 v[152:153], v[0:1], v[16:17]
	v_add_f64 v[104:105], v[64:65], v[22:23]
	v_add_f64 v[102:103], v[64:65], -v[22:23]
	v_mul_f64 v[16:17], v[8:9], s[18:19]
	v_mul_f64 v[18:19], v[10:11], s[40:41]
	;; [unrolled: 1-line block ×11, first 2 shown]
	v_add_f64 v[96:97], v[80:81], -v[38:39]
	v_add_f64 v[94:95], v[80:81], v[38:39]
	v_fma_f64 v[132:133], v[6:7], s[34:35], v[12:13]
	v_fma_f64 v[134:135], v[4:5], s[30:31], v[14:15]
	v_mul_f64 v[126:127], v[10:11], s[8:9]
	v_mul_f64 v[128:129], v[8:9], s[16:17]
	;; [unrolled: 1-line block ×7, first 2 shown]
	v_add_f64 v[92:93], v[50:51], -v[20:21]
	v_add_f64 v[90:91], v[50:51], v[20:21]
	v_add_f64 v[98:99], v[48:49], v[26:27]
	v_mul_f64 v[166:167], v[104:105], s[16:17]
	v_mul_f64 v[168:169], v[102:103], s[38:39]
	v_fma_f64 v[12:13], v[6:7], s[46:47], v[12:13]
	v_fma_f64 v[14:15], v[4:5], s[30:31], -v[14:15]
	v_fma_f64 v[136:137], v[6:7], s[24:25], v[16:17]
	v_fma_f64 v[138:139], v[4:5], s[18:19], v[18:19]
	;; [unrolled: 1-line block ×5, first 2 shown]
	v_fma_f64 v[18:19], v[4:5], s[18:19], -v[18:19]
	v_add_f64 v[132:133], v[2:3], v[132:133]
	v_add_f64 v[134:135], v[0:1], v[134:135]
	v_fma_f64 v[140:141], v[6:7], s[20:21], v[112:113]
	v_fma_f64 v[142:143], v[4:5], s[14:15], v[114:115]
	v_fma_f64 v[112:113], v[6:7], s[48:49], v[112:113]
	v_fma_f64 v[114:115], v[4:5], s[14:15], -v[114:115]
	v_fma_f64 v[144:145], v[6:7], s[12:13], v[116:117]
	v_fma_f64 v[146:147], v[4:5], s[10:11], v[118:119]
	v_fma_f64 v[116:117], v[6:7], s[50:51], v[116:117]
	v_fma_f64 v[118:119], v[4:5], s[10:11], -v[118:119]
	;; [unrolled: 4-line block ×6, first 2 shown]
	v_add_f64 v[132:133], v[148:149], v[132:133]
	v_fma_f64 v[148:149], v[96:97], s[24:25], v[162:163]
	v_add_f64 v[182:183], v[154:155], v[134:135]
	v_fma_f64 v[184:185], v[94:95], s[18:19], v[164:165]
	v_add_f64 v[88:89], v[46:47], -v[24:25]
	v_mul_f64 v[10:11], v[98:99], s[14:15]
	v_add_f64 v[12:13], v[2:3], v[12:13]
	v_add_f64 v[14:15], v[0:1], v[14:15]
	;; [unrolled: 1-line block ×30, first 2 shown]
	v_fma_f64 v[0:1], v[92:93], s[22:23], v[166:167]
	v_add_f64 v[2:3], v[148:149], v[132:133]
	v_fma_f64 v[4:5], v[90:91], s[16:17], v[168:169]
	v_add_f64 v[6:7], v[184:185], v[182:183]
	v_add_f64 v[148:149], v[48:49], -v[26:27]
	v_fma_f64 v[156:157], v[40:41], s[42:43], v[156:157]
	v_add_f64 v[132:133], v[46:47], v[24:25]
	v_add_f64 v[144:145], v[54:55], v[52:53]
	v_add_f64 v[128:129], v[44:45], -v[28:29]
	v_add_f64 v[146:147], v[54:55], -v[52:53]
	v_add_f64 v[130:131], v[44:45], v[28:29]
	v_add_f64 v[142:143], v[78:79], v[60:61]
	v_add_f64 v[124:125], v[66:67], -v[58:59]
	v_add_f64 v[140:141], v[78:79], -v[60:61]
	v_add_f64 v[126:127], v[66:67], v[58:59]
	v_add_f64 v[136:137], v[76:77], v[72:73]
	v_add_f64 v[138:139], v[76:77], -v[72:73]
	v_add_f64 v[122:123], v[74:75], v[62:63]
	v_add_f64 v[86:87], v[150:151], v[86:87]
	v_add_f64 v[84:85], v[152:153], v[84:85]
	v_mul_f64 v[150:151], v[106:107], s[14:15]
	v_add_f64 v[0:1], v[0:1], v[2:3]
	v_fma_f64 v[2:3], v[88:89], s[20:21], v[10:11]
	v_add_f64 v[4:5], v[4:5], v[6:7]
	v_mul_f64 v[6:7], v[148:149], s[48:49]
	v_add_f64 v[12:13], v[156:157], v[12:13]
	v_fma_f64 v[156:157], v[100:101], s[26:27], -v[158:159]
	v_fma_f64 v[10:11], v[88:89], s[48:49], v[10:11]
	v_mul_f64 v[176:177], v[142:143], s[10:11]
	v_mul_f64 v[178:179], v[140:141], s[50:51]
	;; [unrolled: 1-line block ×5, first 2 shown]
	v_add_f64 v[82:83], v[86:87], v[82:83]
	v_add_f64 v[80:81], v[84:85], v[80:81]
	v_mul_f64 v[86:87], v[104:105], s[30:31]
	v_add_f64 v[0:1], v[2:3], v[0:1]
	v_fma_f64 v[2:3], v[132:133], s[14:15], v[6:7]
	v_fma_f64 v[6:7], v[132:133], s[14:15], -v[6:7]
	v_add_f64 v[14:15], v[156:157], v[14:15]
	v_fma_f64 v[156:157], v[96:97], s[40:41], v[162:163]
	v_add_f64 v[64:65], v[82:83], v[64:65]
	v_add_f64 v[50:51], v[80:81], v[50:51]
	v_mul_f64 v[82:83], v[110:111], s[6:7]
	v_fma_f64 v[152:153], v[92:93], s[34:35], v[86:87]
	v_add_f64 v[2:3], v[2:3], v[4:5]
	v_mul_f64 v[4:5], v[144:145], s[4:5]
	v_add_f64 v[12:13], v[156:157], v[12:13]
	v_fma_f64 v[156:157], v[94:95], s[18:19], -v[164:165]
	v_add_f64 v[48:49], v[64:65], v[48:49]
	v_add_f64 v[46:47], v[50:51], v[46:47]
	v_fma_f64 v[84:85], v[100:101], s[0:1], v[82:83]
	v_mul_f64 v[64:65], v[108:109], s[48:49]
	v_fma_f64 v[8:9], v[128:129], s[8:9], v[4:5]
	v_fma_f64 v[4:5], v[128:129], s[44:45], v[4:5]
	v_add_f64 v[14:15], v[156:157], v[14:15]
	v_fma_f64 v[156:157], v[92:93], s[38:39], v[166:167]
	v_add_f64 v[48:49], v[48:49], v[54:55]
	v_add_f64 v[44:45], v[46:47], v[44:45]
	;; [unrolled: 1-line block ×3, first 2 shown]
	v_fma_f64 v[80:81], v[94:95], s[14:15], v[64:65]
	v_fma_f64 v[54:55], v[92:93], s[46:47], v[86:87]
	v_fma_f64 v[64:65], v[94:95], s[14:15], -v[64:65]
	v_add_f64 v[0:1], v[8:9], v[0:1]
	v_mul_f64 v[8:9], v[146:147], s[44:45]
	v_add_f64 v[12:13], v[156:157], v[12:13]
	v_fma_f64 v[156:157], v[90:91], s[16:17], -v[168:169]
	v_add_f64 v[46:47], v[48:49], v[78:79]
	v_fma_f64 v[48:49], v[96:97], s[48:49], v[150:151]
	v_add_f64 v[44:45], v[44:45], v[66:67]
	v_add_f64 v[80:81], v[80:81], v[84:85]
	v_mul_f64 v[78:79], v[110:111], s[22:23]
	v_mul_f64 v[66:67], v[98:99], s[18:19]
	;; [unrolled: 1-line block ×3, first 2 shown]
	v_fma_f64 v[120:121], v[130:131], s[4:5], v[8:9]
	v_fma_f64 v[8:9], v[130:131], s[4:5], -v[8:9]
	v_add_f64 v[10:11], v[10:11], v[12:13]
	v_add_f64 v[14:15], v[156:157], v[14:15]
	v_mul_f64 v[12:13], v[42:43], s[4:5]
	v_mul_f64 v[156:157], v[106:107], s[0:1]
	v_add_f64 v[46:47], v[46:47], v[76:77]
	v_fma_f64 v[76:77], v[100:101], s[0:1], -v[82:83]
	v_add_f64 v[44:45], v[44:45], v[74:75]
	v_fma_f64 v[86:87], v[100:101], s[16:17], -v[78:79]
	v_fma_f64 v[78:79], v[100:101], s[16:17], v[78:79]
	v_add_f64 v[2:3], v[120:121], v[2:3]
	v_fma_f64 v[120:121], v[124:125], s[12:13], v[176:177]
	v_add_f64 v[4:5], v[4:5], v[10:11]
	v_add_f64 v[6:7], v[6:7], v[14:15]
	v_fma_f64 v[10:11], v[122:123], s[0:1], -v[184:185]
	v_mul_f64 v[14:15], v[110:111], s[44:45]
	v_fma_f64 v[158:159], v[96:97], s[36:37], v[156:157]
	v_add_f64 v[46:47], v[46:47], v[72:73]
	v_add_f64 v[76:77], v[76:77], v[134:135]
	;; [unrolled: 1-line block ×3, first 2 shown]
	v_mul_f64 v[72:73], v[144:145], s[10:11]
	v_add_f64 v[86:87], v[86:87], v[114:115]
	v_add_f64 v[78:79], v[78:79], v[112:113]
	v_mul_f64 v[112:113], v[136:137], s[14:15]
	v_add_f64 v[0:1], v[120:121], v[0:1]
	v_fma_f64 v[120:121], v[126:127], s[10:11], v[178:179]
	v_add_f64 v[6:7], v[8:9], v[6:7]
	v_fma_f64 v[8:9], v[124:125], s[50:51], v[176:177]
	v_add_f64 v[46:47], v[46:47], v[60:61]
	v_add_f64 v[64:65], v[64:65], v[76:77]
	v_add_f64 v[44:45], v[44:45], v[58:59]
	v_fma_f64 v[114:115], v[128:129], s[12:13], v[72:73]
	v_mul_f64 v[60:61], v[142:143], s[4:5]
	v_fma_f64 v[72:73], v[128:129], s[50:51], v[72:73]
	v_add_f64 v[180:181], v[120:121], v[2:3]
	v_add_f64 v[120:121], v[74:75], -v[62:63]
	v_mul_f64 v[62:63], v[140:141], s[20:21]
	v_add_f64 v[4:5], v[8:9], v[4:5]
	v_fma_f64 v[8:9], v[126:127], s[10:11], -v[178:179]
	v_add_f64 v[46:47], v[46:47], v[52:53]
	v_add_f64 v[28:29], v[44:45], v[28:29]
	v_fma_f64 v[52:53], v[124:125], s[44:45], v[60:61]
	v_fma_f64 v[60:61], v[124:125], s[8:9], v[60:61]
	;; [unrolled: 1-line block ×4, first 2 shown]
	v_fma_f64 v[62:63], v[126:127], s[14:15], -v[62:63]
	v_add_f64 v[8:9], v[8:9], v[6:7]
	v_fma_f64 v[6:7], v[120:121], s[36:37], v[182:183]
	v_add_f64 v[26:27], v[46:47], v[26:27]
	v_mul_f64 v[46:47], v[138:139], s[48:49]
	v_add_f64 v[2:3], v[2:3], v[0:1]
	v_fma_f64 v[0:1], v[122:123], s[0:1], v[184:185]
	v_add_f64 v[6:7], v[6:7], v[4:5]
	v_add_f64 v[4:5], v[10:11], v[8:9]
	v_fma_f64 v[8:9], v[40:41], s[8:9], v[12:13]
	v_fma_f64 v[10:11], v[100:101], s[4:5], v[14:15]
	;; [unrolled: 1-line block ×3, first 2 shown]
	v_fma_f64 v[14:15], v[100:101], s[4:5], -v[14:15]
	v_add_f64 v[22:23], v[26:27], v[22:23]
	v_fma_f64 v[26:27], v[122:123], s[14:15], -v[46:47]
	v_add_f64 v[0:1], v[0:1], v[180:181]
	v_add_f64 v[8:9], v[8:9], v[186:187]
	;; [unrolled: 1-line block ×4, first 2 shown]
	v_fma_f64 v[16:17], v[96:97], s[6:7], v[156:157]
	v_add_f64 v[14:15], v[14:15], v[18:19]
	v_mul_f64 v[186:187], v[136:137], s[10:11]
	v_mul_f64 v[188:189], v[138:139], s[50:51]
	v_add_f64 v[22:23], v[22:23], v[30:31]
	v_mul_f64 v[30:31], v[138:139], s[42:43]
	v_add_f64 v[8:9], v[158:159], v[8:9]
	v_mul_f64 v[158:159], v[108:109], s[6:7]
	v_add_f64 v[12:13], v[16:17], v[12:13]
	v_fma_f64 v[18:19], v[122:123], s[10:11], -v[188:189]
	v_add_f64 v[22:23], v[22:23], v[36:37]
	v_fma_f64 v[36:37], v[122:123], s[26:27], -v[30:31]
	v_fma_f64 v[30:31], v[122:123], s[26:27], v[30:31]
	v_fma_f64 v[162:163], v[94:95], s[0:1], v[158:159]
	v_fma_f64 v[16:17], v[94:95], s[0:1], -v[158:159]
	v_mul_f64 v[158:159], v[136:137], s[4:5]
	v_add_f64 v[10:11], v[162:163], v[10:11]
	v_mul_f64 v[162:163], v[104:105], s[14:15]
	v_add_f64 v[14:15], v[16:17], v[14:15]
	v_fma_f64 v[164:165], v[92:93], s[48:49], v[162:163]
	v_fma_f64 v[16:17], v[92:93], s[20:21], v[162:163]
	v_mul_f64 v[162:163], v[42:43], s[10:11]
	v_add_f64 v[8:9], v[164:165], v[8:9]
	v_mul_f64 v[164:165], v[102:103], s[20:21]
	v_add_f64 v[12:13], v[16:17], v[12:13]
	v_fma_f64 v[166:167], v[90:91], s[14:15], v[164:165]
	v_fma_f64 v[16:17], v[90:91], s[14:15], -v[164:165]
	v_mul_f64 v[164:165], v[110:111], s[12:13]
	v_add_f64 v[10:11], v[166:167], v[10:11]
	v_mul_f64 v[166:167], v[98:99], s[26:27]
	v_add_f64 v[14:15], v[16:17], v[14:15]
	v_fma_f64 v[168:169], v[88:89], s[42:43], v[166:167]
	v_fma_f64 v[16:17], v[88:89], s[28:29], v[166:167]
	v_mul_f64 v[166:167], v[106:107], s[26:27]
	v_add_f64 v[8:9], v[168:169], v[8:9]
	v_mul_f64 v[168:169], v[148:149], s[28:29]
	v_add_f64 v[12:13], v[16:17], v[12:13]
	v_fma_f64 v[156:157], v[96:97], s[42:43], v[166:167]
	v_fma_f64 v[166:167], v[96:97], s[28:29], v[166:167]
	;; [unrolled: 1-line block ×3, first 2 shown]
	v_fma_f64 v[16:17], v[132:133], s[26:27], -v[168:169]
	v_mul_f64 v[168:169], v[108:109], s[28:29]
	v_add_f64 v[10:11], v[176:177], v[10:11]
	v_mul_f64 v[176:177], v[144:145], s[30:31]
	v_add_f64 v[14:15], v[16:17], v[14:15]
	v_fma_f64 v[178:179], v[128:129], s[34:35], v[176:177]
	v_fma_f64 v[16:17], v[128:129], s[46:47], v[176:177]
	v_mul_f64 v[176:177], v[104:105], s[18:19]
	v_add_f64 v[8:9], v[178:179], v[8:9]
	v_mul_f64 v[178:179], v[146:147], s[46:47]
	v_add_f64 v[12:13], v[16:17], v[12:13]
	v_fma_f64 v[180:181], v[130:131], s[30:31], v[178:179]
	v_fma_f64 v[16:17], v[130:131], s[30:31], -v[178:179]
	v_mul_f64 v[178:179], v[102:103], s[40:41]
	v_add_f64 v[10:11], v[180:181], v[10:11]
	v_mul_f64 v[180:181], v[142:143], s[16:17]
	v_add_f64 v[14:15], v[16:17], v[14:15]
	v_fma_f64 v[182:183], v[124:125], s[22:23], v[180:181]
	v_fma_f64 v[16:17], v[124:125], s[38:39], v[180:181]
	v_mul_f64 v[180:181], v[98:99], s[0:1]
	v_add_f64 v[8:9], v[182:183], v[8:9]
	v_mul_f64 v[182:183], v[140:141], s[38:39]
	v_add_f64 v[12:13], v[16:17], v[12:13]
	v_fma_f64 v[16:17], v[126:127], s[16:17], -v[182:183]
	v_fma_f64 v[184:185], v[126:127], s[16:17], v[182:183]
	v_mul_f64 v[182:183], v[148:149], s[36:37]
	v_add_f64 v[16:17], v[16:17], v[14:15]
	v_fma_f64 v[14:15], v[120:121], s[50:51], v[186:187]
	v_add_f64 v[184:185], v[184:185], v[10:11]
	v_fma_f64 v[10:11], v[120:121], s[12:13], v[186:187]
	v_mul_f64 v[186:187], v[146:147], s[22:23]
	v_add_f64 v[14:15], v[14:15], v[12:13]
	v_add_f64 v[12:13], v[18:19], v[16:17]
	v_fma_f64 v[16:17], v[40:41], s[50:51], v[162:163]
	v_fma_f64 v[18:19], v[100:101], s[10:11], v[164:165]
	v_add_f64 v[10:11], v[10:11], v[8:9]
	v_fma_f64 v[8:9], v[122:123], s[10:11], v[188:189]
	v_fma_f64 v[162:163], v[40:41], s[12:13], v[162:163]
	v_fma_f64 v[164:165], v[100:101], s[10:11], -v[164:165]
	v_add_f64 v[16:17], v[16:17], v[190:191]
	v_add_f64 v[18:19], v[18:19], v[192:193]
	v_mul_f64 v[192:193], v[142:143], s[30:31]
	v_add_f64 v[8:9], v[8:9], v[184:185]
	v_mul_f64 v[184:185], v[144:145], s[16:17]
	;; [unrolled: 2-line block ×3, first 2 shown]
	v_add_f64 v[164:165], v[164:165], v[202:203]
	v_add_f64 v[16:17], v[156:157], v[16:17]
	v_fma_f64 v[156:157], v[94:95], s[26:27], v[168:169]
	v_add_f64 v[162:163], v[166:167], v[162:163]
	v_fma_f64 v[202:203], v[100:101], s[18:19], v[200:201]
	v_fma_f64 v[200:201], v[100:101], s[18:19], -v[200:201]
	v_fma_f64 v[166:167], v[94:95], s[26:27], -v[168:169]
	v_add_f64 v[18:19], v[156:157], v[18:19]
	v_fma_f64 v[156:157], v[92:93], s[24:25], v[176:177]
	v_fma_f64 v[176:177], v[92:93], s[40:41], v[176:177]
	v_add_f64 v[202:203], v[202:203], v[206:207]
	v_add_f64 v[200:201], v[200:201], v[210:211]
	;; [unrolled: 1-line block ×3, first 2 shown]
	v_mul_f64 v[166:167], v[106:107], s[16:17]
	v_add_f64 v[16:17], v[156:157], v[16:17]
	v_fma_f64 v[156:157], v[90:91], s[18:19], v[178:179]
	v_add_f64 v[162:163], v[176:177], v[162:163]
	v_fma_f64 v[176:177], v[90:91], s[18:19], -v[178:179]
	v_fma_f64 v[168:169], v[96:97], s[22:23], v[166:167]
	v_fma_f64 v[166:167], v[96:97], s[38:39], v[166:167]
	v_add_f64 v[18:19], v[156:157], v[18:19]
	v_fma_f64 v[156:157], v[88:89], s[6:7], v[180:181]
	v_add_f64 v[164:165], v[176:177], v[164:165]
	v_mul_f64 v[176:177], v[104:105], s[4:5]
	v_fma_f64 v[180:181], v[88:89], s[36:37], v[180:181]
	v_add_f64 v[16:17], v[156:157], v[16:17]
	v_fma_f64 v[156:157], v[132:133], s[0:1], v[182:183]
	v_fma_f64 v[178:179], v[92:93], s[44:45], v[176:177]
	;; [unrolled: 1-line block ×3, first 2 shown]
	v_add_f64 v[162:163], v[180:181], v[162:163]
	v_fma_f64 v[180:181], v[132:133], s[0:1], -v[182:183]
	v_add_f64 v[18:19], v[156:157], v[18:19]
	v_fma_f64 v[156:157], v[128:129], s[38:39], v[184:185]
	v_add_f64 v[164:165], v[180:181], v[164:165]
	v_mul_f64 v[180:181], v[98:99], s[30:31]
	v_add_f64 v[16:17], v[156:157], v[16:17]
	v_fma_f64 v[156:157], v[130:131], s[16:17], v[186:187]
	v_fma_f64 v[182:183], v[88:89], s[34:35], v[180:181]
	;; [unrolled: 1-line block ×3, first 2 shown]
	v_add_f64 v[18:19], v[156:157], v[18:19]
	v_fma_f64 v[156:157], v[124:125], s[34:35], v[192:193]
	v_add_f64 v[16:17], v[156:157], v[16:17]
	v_fma_f64 v[156:157], v[126:127], s[30:31], v[220:221]
	;; [unrolled: 2-line block ×3, first 2 shown]
	v_mul_f64 v[156:157], v[138:139], s[44:45]
	v_add_f64 v[18:19], v[18:19], v[16:17]
	v_fma_f64 v[16:17], v[122:123], s[4:5], v[156:157]
	v_add_f64 v[16:17], v[16:17], v[188:189]
	v_mul_f64 v[188:189], v[42:43], s[18:19]
	v_fma_f64 v[190:191], v[40:41], s[40:41], v[188:189]
	v_fma_f64 v[188:189], v[40:41], s[24:25], v[188:189]
	v_add_f64 v[190:191], v[190:191], v[204:205]
	v_add_f64 v[188:189], v[188:189], v[208:209]
	v_mul_f64 v[208:209], v[110:111], s[46:47]
	v_mul_f64 v[204:205], v[42:43], s[30:31]
	v_add_f64 v[168:169], v[168:169], v[190:191]
	v_mul_f64 v[190:191], v[108:109], s[38:39]
	v_fma_f64 v[210:211], v[100:101], s[30:31], v[208:209]
	v_fma_f64 v[206:207], v[40:41], s[34:35], v[204:205]
	;; [unrolled: 1-line block ×3, first 2 shown]
	v_add_f64 v[166:167], v[166:167], v[188:189]
	v_fma_f64 v[208:209], v[100:101], s[30:31], -v[208:209]
	v_add_f64 v[168:169], v[178:179], v[168:169]
	v_fma_f64 v[188:189], v[94:95], s[16:17], -v[190:191]
	v_add_f64 v[170:171], v[210:211], v[170:171]
	v_mul_f64 v[210:211], v[42:43], s[14:15]
	v_add_f64 v[206:207], v[206:207], v[212:213]
	v_add_f64 v[204:205], v[204:205], v[214:215]
	;; [unrolled: 1-line block ×3, first 2 shown]
	v_mul_f64 v[178:179], v[102:103], s[8:9]
	v_add_f64 v[166:167], v[176:177], v[166:167]
	v_add_f64 v[168:169], v[182:183], v[168:169]
	;; [unrolled: 1-line block ×3, first 2 shown]
	v_mul_f64 v[182:183], v[148:149], s[46:47]
	v_fma_f64 v[212:213], v[40:41], s[20:21], v[210:211]
	v_fma_f64 v[210:211], v[40:41], s[48:49], v[210:211]
	v_fma_f64 v[176:177], v[90:91], s[4:5], -v[178:179]
	v_add_f64 v[166:167], v[180:181], v[166:167]
	v_fma_f64 v[180:181], v[132:133], s[30:31], -v[182:183]
	v_add_f64 v[172:173], v[212:213], v[172:173]
	v_mul_f64 v[212:213], v[110:111], s[48:49]
	v_add_f64 v[210:211], v[210:211], v[218:219]
	v_mul_f64 v[218:219], v[144:145], s[26:27]
	v_add_f64 v[176:177], v[176:177], v[188:189]
	v_fma_f64 v[214:215], v[100:101], s[14:15], v[212:213]
	v_add_f64 v[176:177], v[180:181], v[176:177]
	v_mul_f64 v[180:181], v[98:99], s[4:5]
	v_add_f64 v[174:175], v[214:215], v[174:175]
	v_fma_f64 v[214:215], v[94:95], s[16:17], v[190:191]
	v_mul_f64 v[190:191], v[106:107], s[10:11]
	v_add_f64 v[202:203], v[214:215], v[202:203]
	v_fma_f64 v[200:201], v[96:97], s[50:51], v[190:191]
	v_fma_f64 v[190:191], v[96:97], s[12:13], v[190:191]
	v_add_f64 v[200:201], v[200:201], v[206:207]
	v_mul_f64 v[206:207], v[108:109], s[12:13]
	v_add_f64 v[190:191], v[190:191], v[204:205]
	v_fma_f64 v[214:215], v[94:95], s[10:11], v[206:207]
	v_fma_f64 v[204:205], v[94:95], s[10:11], -v[206:207]
	v_mul_f64 v[206:207], v[106:107], s[30:31]
	v_add_f64 v[170:171], v[214:215], v[170:171]
	v_add_f64 v[204:205], v[204:205], v[208:209]
	v_fma_f64 v[208:209], v[96:97], s[46:47], v[206:207]
	v_fma_f64 v[206:207], v[96:97], s[34:35], v[206:207]
	v_add_f64 v[172:173], v[208:209], v[172:173]
	v_add_f64 v[206:207], v[206:207], v[210:211]
	v_fma_f64 v[210:211], v[90:91], s[4:5], v[178:179]
	v_mul_f64 v[178:179], v[104:105], s[26:27]
	v_mul_f64 v[208:209], v[108:109], s[34:35]
	v_add_f64 v[202:203], v[210:211], v[202:203]
	v_fma_f64 v[188:189], v[92:93], s[28:29], v[178:179]
	v_fma_f64 v[178:179], v[92:93], s[42:43], v[178:179]
	;; [unrolled: 1-line block ×3, first 2 shown]
	v_add_f64 v[188:189], v[188:189], v[200:201]
	v_mul_f64 v[200:201], v[102:103], s[42:43]
	v_add_f64 v[178:179], v[178:179], v[190:191]
	v_add_f64 v[174:175], v[214:215], v[174:175]
	v_fma_f64 v[210:211], v[90:91], s[26:27], v[200:201]
	v_fma_f64 v[190:191], v[90:91], s[26:27], -v[200:201]
	v_mul_f64 v[200:201], v[104:105], s[10:11]
	v_add_f64 v[170:171], v[210:211], v[170:171]
	v_add_f64 v[190:191], v[190:191], v[204:205]
	v_fma_f64 v[204:205], v[92:93], s[50:51], v[200:201]
	v_fma_f64 v[200:201], v[92:93], s[12:13], v[200:201]
	v_add_f64 v[172:173], v[204:205], v[172:173]
	v_add_f64 v[200:201], v[200:201], v[206:207]
	v_fma_f64 v[206:207], v[132:133], s[30:31], v[182:183]
	v_fma_f64 v[182:183], v[88:89], s[44:45], v[180:181]
	;; [unrolled: 1-line block ×3, first 2 shown]
	v_mul_f64 v[204:205], v[102:103], s[12:13]
	v_add_f64 v[202:203], v[206:207], v[202:203]
	v_add_f64 v[182:183], v[182:183], v[188:189]
	v_mul_f64 v[188:189], v[148:149], s[8:9]
	v_add_f64 v[178:179], v[180:181], v[178:179]
	v_fma_f64 v[210:211], v[90:91], s[10:11], v[204:205]
	v_fma_f64 v[180:181], v[132:133], s[4:5], -v[188:189]
	v_fma_f64 v[206:207], v[132:133], s[4:5], v[188:189]
	v_add_f64 v[174:175], v[210:211], v[174:175]
	v_add_f64 v[180:181], v[180:181], v[190:191]
	v_mul_f64 v[190:191], v[98:99], s[16:17]
	v_add_f64 v[170:171], v[206:207], v[170:171]
	v_fma_f64 v[188:189], v[88:89], s[22:23], v[190:191]
	v_add_f64 v[206:207], v[188:189], v[172:173]
	v_mul_f64 v[188:189], v[148:149], s[38:39]
	v_fma_f64 v[172:173], v[132:133], s[16:17], v[188:189]
	v_fma_f64 v[106:107], v[132:133], s[16:17], -v[188:189]
	v_add_f64 v[210:211], v[172:173], v[174:175]
	v_fma_f64 v[172:173], v[88:89], s[38:39], v[190:191]
	v_mul_f64 v[190:191], v[146:147], s[28:29]
	v_add_f64 v[200:201], v[172:173], v[200:201]
	v_fma_f64 v[172:173], v[128:129], s[22:23], v[184:185]
	v_add_f64 v[162:163], v[172:173], v[162:163]
	v_fma_f64 v[172:173], v[130:131], s[16:17], -v[186:187]
	v_add_f64 v[164:165], v[172:173], v[164:165]
	v_mul_f64 v[172:173], v[144:145], s[0:1]
	v_fma_f64 v[174:175], v[128:129], s[6:7], v[172:173]
	v_fma_f64 v[172:173], v[128:129], s[36:37], v[172:173]
	v_add_f64 v[168:169], v[174:175], v[168:169]
	v_mul_f64 v[174:175], v[146:147], s[36:37]
	v_fma_f64 v[184:185], v[130:131], s[0:1], v[174:175]
	v_add_f64 v[186:187], v[184:185], v[202:203]
	v_add_f64 v[202:203], v[172:173], v[166:167]
	v_fma_f64 v[166:167], v[130:131], s[0:1], -v[174:175]
	v_add_f64 v[214:215], v[166:167], v[176:177]
	v_mul_f64 v[166:167], v[144:145], s[18:19]
	v_fma_f64 v[172:173], v[128:129], s[24:25], v[166:167]
	v_fma_f64 v[166:167], v[128:129], s[40:41], v[166:167]
	v_add_f64 v[216:217], v[172:173], v[182:183]
	v_mul_f64 v[172:173], v[146:147], s[40:41]
	v_add_f64 v[184:185], v[166:167], v[178:179]
	v_fma_f64 v[166:167], v[130:131], s[18:19], -v[172:173]
	v_fma_f64 v[174:175], v[130:131], s[18:19], v[172:173]
	v_add_f64 v[172:173], v[166:167], v[180:181]
	v_fma_f64 v[166:167], v[128:129], s[42:43], v[218:219]
	v_add_f64 v[182:183], v[174:175], v[170:171]
	v_mul_f64 v[170:171], v[142:143], s[26:27]
	v_add_f64 v[62:63], v[62:63], v[172:173]
	v_add_f64 v[174:175], v[166:167], v[206:207]
	v_fma_f64 v[166:167], v[130:131], s[26:27], v[190:191]
	v_add_f64 v[176:177], v[166:167], v[210:211]
	v_fma_f64 v[166:167], v[124:125], s[46:47], v[192:193]
	v_mul_f64 v[192:193], v[142:143], s[14:15]
	v_add_f64 v[180:181], v[166:167], v[162:163]
	v_fma_f64 v[162:163], v[126:127], s[30:31], -v[220:221]
	v_add_f64 v[162:163], v[162:163], v[164:165]
	v_fma_f64 v[164:165], v[124:125], s[42:43], v[170:171]
	v_fma_f64 v[170:171], v[124:125], s[28:29], v[170:171]
	v_add_f64 v[164:165], v[164:165], v[168:169]
	v_mul_f64 v[168:169], v[140:141], s[28:29]
	v_add_f64 v[178:179], v[170:171], v[202:203]
	v_fma_f64 v[166:167], v[126:127], s[26:27], v[168:169]
	v_fma_f64 v[168:169], v[126:127], s[26:27], -v[168:169]
	v_add_f64 v[166:167], v[166:167], v[186:187]
	v_fma_f64 v[186:187], v[128:129], s[28:29], v[218:219]
	v_add_f64 v[170:171], v[168:169], v[214:215]
	v_fma_f64 v[168:169], v[124:125], s[48:49], v[192:193]
	v_add_f64 v[186:187], v[186:187], v[200:201]
	v_fma_f64 v[200:201], v[100:101], s[14:15], -v[212:213]
	v_mul_f64 v[100:101], v[104:105], s[0:1]
	v_fma_f64 v[104:105], v[96:97], s[8:9], v[84:85]
	v_fma_f64 v[84:85], v[96:97], s[44:45], v[84:85]
	v_add_f64 v[168:169], v[168:169], v[216:217]
	v_add_f64 v[26:27], v[26:27], v[170:171]
	v_add_f64 v[194:195], v[200:201], v[194:195]
	v_fma_f64 v[200:201], v[94:95], s[30:31], -v[208:209]
	v_add_f64 v[194:195], v[200:201], v[194:195]
	v_fma_f64 v[200:201], v[90:91], s[10:11], -v[204:205]
	v_add_f64 v[194:195], v[200:201], v[194:195]
	v_mul_f64 v[200:201], v[42:43], s[0:1]
	v_mul_f64 v[42:43], v[42:43], s[16:17]
	v_add_f64 v[106:107], v[106:107], v[194:195]
	v_fma_f64 v[50:51], v[40:41], s[6:7], v[200:201]
	v_fma_f64 v[202:203], v[40:41], s[36:37], v[200:201]
	;; [unrolled: 1-line block ×4, first 2 shown]
	v_mul_f64 v[42:43], v[108:109], s[8:9]
	v_mul_f64 v[108:109], v[146:147], s[12:13]
	v_add_f64 v[50:51], v[50:51], v[154:155]
	v_add_f64 v[196:197], v[202:203], v[196:197]
	v_fma_f64 v[202:203], v[96:97], s[20:21], v[150:151]
	v_add_f64 v[40:41], v[40:41], v[116:117]
	v_fma_f64 v[110:111], v[94:95], s[4:5], -v[42:43]
	v_add_f64 v[82:83], v[82:83], v[118:119]
	v_fma_f64 v[42:43], v[94:95], s[4:5], v[42:43]
	v_mul_f64 v[94:95], v[98:99], s[10:11]
	v_fma_f64 v[98:99], v[92:93], s[6:7], v[100:101]
	v_fma_f64 v[118:119], v[130:131], s[26:27], -v[190:191]
	v_fma_f64 v[116:117], v[124:125], s[20:21], v[192:193]
	v_add_f64 v[48:49], v[48:49], v[50:51]
	v_mul_f64 v[50:51], v[102:103], s[46:47]
	v_add_f64 v[196:197], v[202:203], v[196:197]
	v_mul_f64 v[102:103], v[102:103], s[6:7]
	v_add_f64 v[40:41], v[104:105], v[40:41]
	v_add_f64 v[86:87], v[110:111], v[86:87]
	v_mul_f64 v[110:111], v[148:149], s[50:51]
	v_add_f64 v[42:43], v[42:43], v[78:79]
	v_add_f64 v[48:49], v[54:55], v[48:49]
	v_fma_f64 v[74:75], v[90:91], s[30:31], v[50:51]
	v_fma_f64 v[54:55], v[88:89], s[24:25], v[66:67]
	v_add_f64 v[152:153], v[152:153], v[196:197]
	v_fma_f64 v[66:67], v[88:89], s[40:41], v[66:67]
	v_fma_f64 v[50:51], v[90:91], s[30:31], -v[50:51]
	v_fma_f64 v[104:105], v[90:91], s[0:1], -v[102:103]
	v_fma_f64 v[78:79], v[90:91], s[0:1], v[102:103]
	v_add_f64 v[40:41], v[98:99], v[40:41]
	v_mul_f64 v[90:91], v[144:145], s[14:15]
	v_fma_f64 v[98:99], v[132:133], s[10:11], -v[110:111]
	v_fma_f64 v[102:103], v[120:121], s[48:49], v[112:113]
	v_add_f64 v[74:75], v[74:75], v[80:81]
	v_mul_f64 v[80:81], v[148:149], s[24:25]
	v_add_f64 v[48:49], v[54:55], v[48:49]
	v_add_f64 v[66:67], v[66:67], v[152:153]
	;; [unrolled: 1-line block ×4, first 2 shown]
	v_mul_f64 v[54:55], v[142:143], s[0:1]
	v_add_f64 v[86:87], v[104:105], v[86:87]
	v_add_f64 v[42:43], v[78:79], v[42:43]
	v_mul_f64 v[104:105], v[142:143], s[18:19]
	v_mul_f64 v[78:79], v[140:141], s[40:41]
	v_add_f64 v[82:83], v[58:59], v[182:183]
	v_fma_f64 v[58:59], v[120:121], s[44:45], v[158:159]
	v_add_f64 v[84:85], v[116:117], v[184:185]
	v_fma_f64 v[76:77], v[132:133], s[18:19], v[80:81]
	v_add_f64 v[48:49], v[114:115], v[48:49]
	v_fma_f64 v[44:45], v[132:133], s[18:19], -v[80:81]
	v_fma_f64 v[80:81], v[92:93], s[36:37], v[100:101]
	v_add_f64 v[66:67], v[72:73], v[66:67]
	v_fma_f64 v[72:73], v[88:89], s[50:51], v[94:95]
	v_mul_f64 v[100:101], v[146:147], s[48:49]
	v_fma_f64 v[96:97], v[124:125], s[6:7], v[54:55]
	v_add_f64 v[86:87], v[98:99], v[86:87]
	v_fma_f64 v[54:55], v[124:125], s[36:37], v[54:55]
	v_add_f64 v[74:75], v[76:77], v[74:75]
	;; [unrolled: 2-line block ×3, first 2 shown]
	v_add_f64 v[44:45], v[44:45], v[50:51]
	v_add_f64 v[50:51], v[80:81], v[64:65]
	v_fma_f64 v[52:53], v[88:89], s[12:13], v[94:95]
	v_fma_f64 v[88:89], v[132:133], s[10:11], v[110:111]
	v_add_f64 v[40:41], v[72:73], v[40:41]
	v_fma_f64 v[72:73], v[128:129], s[48:49], v[90:91]
	v_fma_f64 v[98:99], v[130:131], s[14:15], -v[100:101]
	v_fma_f64 v[80:81], v[130:131], s[10:11], -v[108:109]
	v_mul_f64 v[94:95], v[140:141], s[6:7]
	v_fma_f64 v[90:91], v[128:129], s[20:21], v[90:91]
	v_fma_f64 v[100:101], v[130:131], s[14:15], v[100:101]
	v_add_f64 v[92:93], v[96:97], v[186:187]
	v_add_f64 v[96:97], v[118:119], v[106:107]
	v_fma_f64 v[106:107], v[122:123], s[14:15], v[46:47]
	v_mul_f64 v[46:47], v[136:137], s[16:17]
	v_mul_f64 v[110:111], v[136:137], s[30:31]
	v_fma_f64 v[64:65], v[120:121], s[20:21], v[112:113]
	v_add_f64 v[66:67], v[60:61], v[66:67]
	v_add_f64 v[74:75], v[76:77], v[74:75]
	v_add_f64 v[76:77], v[28:29], v[24:25]
	v_add_f64 v[28:29], v[102:103], v[178:179]
	v_mul_f64 v[102:103], v[138:139], s[38:39]
	v_add_f64 v[50:51], v[52:53], v[50:51]
	v_add_f64 v[42:43], v[88:89], v[42:43]
	v_mul_f64 v[88:89], v[136:137], s[26:27]
	v_add_f64 v[40:41], v[72:73], v[40:41]
	v_fma_f64 v[72:73], v[124:125], s[40:41], v[104:105]
	v_add_f64 v[86:87], v[98:99], v[86:87]
	v_fma_f64 v[98:99], v[126:127], s[18:19], -v[78:79]
	v_add_f64 v[44:45], v[80:81], v[44:45]
	v_mul_f64 v[52:53], v[136:137], s[18:19]
	v_mul_f64 v[80:81], v[138:139], s[40:41]
	v_fma_f64 v[108:109], v[126:127], s[0:1], -v[94:95]
	v_fma_f64 v[94:95], v[126:127], s[0:1], v[94:95]
	v_fma_f64 v[104:105], v[124:125], s[24:25], v[104:105]
	;; [unrolled: 1-line block ×5, first 2 shown]
	v_add_f64 v[24:25], v[58:59], v[180:181]
	v_fma_f64 v[58:59], v[122:123], s[4:5], -v[156:157]
	v_add_f64 v[124:125], v[54:55], v[174:175]
	v_add_f64 v[20:21], v[76:77], v[20:21]
	v_mul_f64 v[76:77], v[140:141], s[44:45]
	v_add_f64 v[54:55], v[64:65], v[164:165]
	v_add_f64 v[50:51], v[90:91], v[50:51]
	;; [unrolled: 1-line block ×3, first 2 shown]
	v_fma_f64 v[90:91], v[122:123], s[16:17], v[102:103]
	v_fma_f64 v[102:103], v[122:123], s[16:17], -v[102:103]
	v_add_f64 v[40:41], v[72:73], v[40:41]
	v_fma_f64 v[72:73], v[120:121], s[42:43], v[88:89]
	v_add_f64 v[86:87], v[98:99], v[86:87]
	v_fma_f64 v[98:99], v[120:121], s[46:47], v[110:111]
	v_fma_f64 v[116:117], v[120:121], s[40:41], v[52:53]
	v_fma_f64 v[100:101], v[122:123], s[18:19], -v[80:81]
	v_add_f64 v[96:97], v[108:109], v[96:97]
	v_fma_f64 v[108:109], v[120:121], s[24:25], v[52:53]
	v_fma_f64 v[80:81], v[122:123], s[18:19], v[80:81]
	v_add_f64 v[94:95], v[94:95], v[176:177]
	v_fma_f64 v[88:89], v[120:121], s[28:29], v[88:89]
	v_add_f64 v[52:53], v[106:107], v[166:167]
	v_add_f64 v[20:21], v[20:21], v[38:39]
	v_mul_f64 v[38:39], v[138:139], s[46:47]
	v_fma_f64 v[112:113], v[126:127], s[4:5], -v[76:77]
	v_fma_f64 v[76:77], v[126:127], s[4:5], v[76:77]
	v_add_f64 v[104:105], v[104:105], v[50:51]
	v_add_f64 v[78:79], v[78:79], v[42:43]
	;; [unrolled: 1-line block ×10, first 2 shown]
	v_fma_f64 v[118:119], v[122:123], s[30:31], -v[38:39]
	v_add_f64 v[112:113], v[112:113], v[44:45]
	v_add_f64 v[74:75], v[76:77], v[74:75]
	v_fma_f64 v[76:77], v[120:121], s[34:35], v[110:111]
	v_fma_f64 v[110:111], v[122:123], s[30:31], v[38:39]
	v_add_f64 v[34:35], v[46:47], v[84:85]
	v_add_f64 v[46:47], v[98:99], v[40:41]
	v_add_f64 v[38:39], v[116:117], v[92:93]
	v_add_f64 v[48:49], v[20:21], v[32:33]
	v_add_f64 v[44:45], v[118:119], v[86:87]
	v_add_f64 v[40:41], v[36:37], v[112:113]
	v_add_f64 v[36:37], v[100:101], v[96:97]
	v_add_f64 v[32:33], v[102:103], v[62:63]
	v_add_f64 v[62:63], v[108:109], v[124:125]
	v_add_f64 v[64:65], v[30:31], v[74:75]
	v_add_f64 v[74:75], v[76:77], v[104:105]
	v_add_f64 v[72:73], v[110:111], v[78:79]
	ds_write_b128 v199, v[48:51]
	ds_write_b128 v69, v[44:47] offset:832
	ds_write_b128 v69, v[40:43] offset:1664
	;; [unrolled: 1-line block ×16, first 2 shown]
.LBB0_26:
	s_or_b32 exec_lo, exec_lo, s33
	s_waitcnt lgkmcnt(0)
	s_barrier
	buffer_gl0_inv
	s_and_saveexec_b32 s0, vcc_lo
	s_cbranch_execz .LBB0_28
; %bb.27:
	v_mov_b32_e32 v69, 0
	v_add_co_u32 v30, vcc_lo, s2, v70
	v_lshl_add_u32 v28, v68, 4, v198
	v_add_co_ci_u32_e32 v31, vcc_lo, s3, v71, vcc_lo
	v_lshlrev_b64 v[0:1], 4, v[68:69]
	v_add_nc_u32_e32 v8, 0x44, v68
	v_mov_b32_e32 v9, v69
	v_add_nc_u32_e32 v10, 0x88, v68
	v_mov_b32_e32 v11, v69
	v_add_nc_u32_e32 v22, 0xcc, v68
	v_add_co_u32 v16, vcc_lo, v30, v0
	v_add_co_ci_u32_e32 v17, vcc_lo, v31, v1, vcc_lo
	ds_read_b128 v[0:3], v28
	ds_read_b128 v[4:7], v28 offset:1088
	v_lshlrev_b64 v[18:19], 4, v[8:9]
	v_lshlrev_b64 v[20:21], 4, v[10:11]
	ds_read_b128 v[8:11], v28 offset:2176
	ds_read_b128 v[12:15], v28 offset:3264
	v_mov_b32_e32 v23, v69
	v_add_nc_u32_e32 v24, 0x110, v68
	v_mov_b32_e32 v25, v69
	v_add_co_u32 v18, vcc_lo, v30, v18
	v_lshlrev_b64 v[22:23], 4, v[22:23]
	v_add_co_ci_u32_e32 v19, vcc_lo, v31, v19, vcc_lo
	v_add_co_u32 v20, vcc_lo, v30, v20
	v_add_co_ci_u32_e32 v21, vcc_lo, v31, v21, vcc_lo
	v_add_co_u32 v22, vcc_lo, v30, v22
	v_add_co_ci_u32_e32 v23, vcc_lo, v31, v23, vcc_lo
	s_waitcnt lgkmcnt(3)
	global_store_dwordx4 v[16:17], v[0:3], off
	s_waitcnt lgkmcnt(2)
	global_store_dwordx4 v[18:19], v[4:7], off
	;; [unrolled: 2-line block ×4, first 2 shown]
	v_lshlrev_b64 v[0:1], 4, v[24:25]
	v_add_nc_u32_e32 v8, 0x154, v68
	v_mov_b32_e32 v9, v69
	v_add_nc_u32_e32 v10, 0x198, v68
	v_mov_b32_e32 v11, v69
	v_add_nc_u32_e32 v22, 0x1dc, v68
	v_add_co_u32 v16, vcc_lo, v30, v0
	v_add_co_ci_u32_e32 v17, vcc_lo, v31, v1, vcc_lo
	ds_read_b128 v[0:3], v28 offset:4352
	ds_read_b128 v[4:7], v28 offset:5440
	v_lshlrev_b64 v[18:19], 4, v[8:9]
	v_lshlrev_b64 v[20:21], 4, v[10:11]
	ds_read_b128 v[8:11], v28 offset:6528
	ds_read_b128 v[12:15], v28 offset:7616
	v_mov_b32_e32 v23, v69
	v_add_nc_u32_e32 v24, 0x220, v68
	v_add_co_u32 v18, vcc_lo, v30, v18
	v_lshlrev_b64 v[22:23], 4, v[22:23]
	v_add_co_ci_u32_e32 v19, vcc_lo, v31, v19, vcc_lo
	v_add_co_u32 v20, vcc_lo, v30, v20
	v_add_co_ci_u32_e32 v21, vcc_lo, v31, v21, vcc_lo
	v_add_co_u32 v22, vcc_lo, v30, v22
	s_waitcnt lgkmcnt(3)
	global_store_dwordx4 v[16:17], v[0:3], off
	s_waitcnt lgkmcnt(2)
	global_store_dwordx4 v[18:19], v[4:7], off
	v_add_nc_u32_e32 v2, 0x264, v68
	v_mov_b32_e32 v3, v69
	v_add_co_ci_u32_e32 v23, vcc_lo, v31, v23, vcc_lo
	v_lshlrev_b64 v[0:1], 4, v[24:25]
	s_waitcnt lgkmcnt(1)
	global_store_dwordx4 v[20:21], v[8:11], off
	s_waitcnt lgkmcnt(0)
	global_store_dwordx4 v[22:23], v[12:15], off
	v_lshlrev_b64 v[8:9], 4, v[2:3]
	v_add_nc_u32_e32 v10, 0x2a8, v68
	v_mov_b32_e32 v11, v69
	v_add_co_u32 v20, vcc_lo, v30, v0
	v_add_co_ci_u32_e32 v21, vcc_lo, v31, v1, vcc_lo
	v_add_co_u32 v22, vcc_lo, v30, v8
	ds_read_b128 v[0:3], v28 offset:8704
	ds_read_b128 v[4:7], v28 offset:9792
	v_add_co_ci_u32_e32 v23, vcc_lo, v31, v9, vcc_lo
	v_lshlrev_b64 v[26:27], 4, v[10:11]
	ds_read_b128 v[8:11], v28 offset:10880
	ds_read_b128 v[12:15], v28 offset:11968
	;; [unrolled: 1-line block ×3, first 2 shown]
	v_add_nc_u32_e32 v24, 0x2ec, v68
	v_add_nc_u32_e32 v68, 0x330, v68
	v_add_co_u32 v26, vcc_lo, v30, v26
	v_lshlrev_b64 v[24:25], 4, v[24:25]
	v_lshlrev_b64 v[28:29], 4, v[68:69]
	v_add_co_ci_u32_e32 v27, vcc_lo, v31, v27, vcc_lo
	v_add_co_u32 v24, vcc_lo, v30, v24
	v_add_co_ci_u32_e32 v25, vcc_lo, v31, v25, vcc_lo
	v_add_co_u32 v28, vcc_lo, v30, v28
	v_add_co_ci_u32_e32 v29, vcc_lo, v31, v29, vcc_lo
	s_waitcnt lgkmcnt(4)
	global_store_dwordx4 v[20:21], v[0:3], off
	s_waitcnt lgkmcnt(3)
	global_store_dwordx4 v[22:23], v[4:7], off
	;; [unrolled: 2-line block ×5, first 2 shown]
.LBB0_28:
	s_endpgm
	.section	.rodata,"a",@progbits
	.p2align	6, 0x0
	.amdhsa_kernel fft_rtc_fwd_len884_factors_13_4_17_wgs_204_tpt_68_halfLds_dp_ip_CI_unitstride_sbrr_C2R_dirReg
		.amdhsa_group_segment_fixed_size 0
		.amdhsa_private_segment_fixed_size 0
		.amdhsa_kernarg_size 88
		.amdhsa_user_sgpr_count 6
		.amdhsa_user_sgpr_private_segment_buffer 1
		.amdhsa_user_sgpr_dispatch_ptr 0
		.amdhsa_user_sgpr_queue_ptr 0
		.amdhsa_user_sgpr_kernarg_segment_ptr 1
		.amdhsa_user_sgpr_dispatch_id 0
		.amdhsa_user_sgpr_flat_scratch_init 0
		.amdhsa_user_sgpr_private_segment_size 0
		.amdhsa_wavefront_size32 1
		.amdhsa_uses_dynamic_stack 0
		.amdhsa_system_sgpr_private_segment_wavefront_offset 0
		.amdhsa_system_sgpr_workgroup_id_x 1
		.amdhsa_system_sgpr_workgroup_id_y 0
		.amdhsa_system_sgpr_workgroup_id_z 0
		.amdhsa_system_sgpr_workgroup_info 0
		.amdhsa_system_vgpr_workitem_id 0
		.amdhsa_next_free_vgpr 222
		.amdhsa_next_free_sgpr 52
		.amdhsa_reserve_vcc 1
		.amdhsa_reserve_flat_scratch 0
		.amdhsa_float_round_mode_32 0
		.amdhsa_float_round_mode_16_64 0
		.amdhsa_float_denorm_mode_32 3
		.amdhsa_float_denorm_mode_16_64 3
		.amdhsa_dx10_clamp 1
		.amdhsa_ieee_mode 1
		.amdhsa_fp16_overflow 0
		.amdhsa_workgroup_processor_mode 1
		.amdhsa_memory_ordered 1
		.amdhsa_forward_progress 0
		.amdhsa_shared_vgpr_count 0
		.amdhsa_exception_fp_ieee_invalid_op 0
		.amdhsa_exception_fp_denorm_src 0
		.amdhsa_exception_fp_ieee_div_zero 0
		.amdhsa_exception_fp_ieee_overflow 0
		.amdhsa_exception_fp_ieee_underflow 0
		.amdhsa_exception_fp_ieee_inexact 0
		.amdhsa_exception_int_div_zero 0
	.end_amdhsa_kernel
	.text
.Lfunc_end0:
	.size	fft_rtc_fwd_len884_factors_13_4_17_wgs_204_tpt_68_halfLds_dp_ip_CI_unitstride_sbrr_C2R_dirReg, .Lfunc_end0-fft_rtc_fwd_len884_factors_13_4_17_wgs_204_tpt_68_halfLds_dp_ip_CI_unitstride_sbrr_C2R_dirReg
                                        ; -- End function
	.section	.AMDGPU.csdata,"",@progbits
; Kernel info:
; codeLenInByte = 16340
; NumSgprs: 54
; NumVgprs: 222
; ScratchSize: 0
; MemoryBound: 0
; FloatMode: 240
; IeeeMode: 1
; LDSByteSize: 0 bytes/workgroup (compile time only)
; SGPRBlocks: 6
; VGPRBlocks: 27
; NumSGPRsForWavesPerEU: 54
; NumVGPRsForWavesPerEU: 222
; Occupancy: 4
; WaveLimiterHint : 1
; COMPUTE_PGM_RSRC2:SCRATCH_EN: 0
; COMPUTE_PGM_RSRC2:USER_SGPR: 6
; COMPUTE_PGM_RSRC2:TRAP_HANDLER: 0
; COMPUTE_PGM_RSRC2:TGID_X_EN: 1
; COMPUTE_PGM_RSRC2:TGID_Y_EN: 0
; COMPUTE_PGM_RSRC2:TGID_Z_EN: 0
; COMPUTE_PGM_RSRC2:TIDIG_COMP_CNT: 0
	.text
	.p2alignl 6, 3214868480
	.fill 48, 4, 3214868480
	.type	__hip_cuid_b6a48b12e3328f8c,@object ; @__hip_cuid_b6a48b12e3328f8c
	.section	.bss,"aw",@nobits
	.globl	__hip_cuid_b6a48b12e3328f8c
__hip_cuid_b6a48b12e3328f8c:
	.byte	0                               ; 0x0
	.size	__hip_cuid_b6a48b12e3328f8c, 1

	.ident	"AMD clang version 19.0.0git (https://github.com/RadeonOpenCompute/llvm-project roc-6.4.0 25133 c7fe45cf4b819c5991fe208aaa96edf142730f1d)"
	.section	".note.GNU-stack","",@progbits
	.addrsig
	.addrsig_sym __hip_cuid_b6a48b12e3328f8c
	.amdgpu_metadata
---
amdhsa.kernels:
  - .args:
      - .actual_access:  read_only
        .address_space:  global
        .offset:         0
        .size:           8
        .value_kind:     global_buffer
      - .offset:         8
        .size:           8
        .value_kind:     by_value
      - .actual_access:  read_only
        .address_space:  global
        .offset:         16
        .size:           8
        .value_kind:     global_buffer
      - .actual_access:  read_only
        .address_space:  global
        .offset:         24
        .size:           8
        .value_kind:     global_buffer
      - .offset:         32
        .size:           8
        .value_kind:     by_value
      - .actual_access:  read_only
        .address_space:  global
        .offset:         40
        .size:           8
        .value_kind:     global_buffer
      - .actual_access:  read_only
        .address_space:  global
        .offset:         48
        .size:           8
        .value_kind:     global_buffer
      - .offset:         56
        .size:           4
        .value_kind:     by_value
      - .actual_access:  read_only
        .address_space:  global
        .offset:         64
        .size:           8
        .value_kind:     global_buffer
      - .actual_access:  read_only
        .address_space:  global
        .offset:         72
        .size:           8
        .value_kind:     global_buffer
      - .address_space:  global
        .offset:         80
        .size:           8
        .value_kind:     global_buffer
    .group_segment_fixed_size: 0
    .kernarg_segment_align: 8
    .kernarg_segment_size: 88
    .language:       OpenCL C
    .language_version:
      - 2
      - 0
    .max_flat_workgroup_size: 204
    .name:           fft_rtc_fwd_len884_factors_13_4_17_wgs_204_tpt_68_halfLds_dp_ip_CI_unitstride_sbrr_C2R_dirReg
    .private_segment_fixed_size: 0
    .sgpr_count:     54
    .sgpr_spill_count: 0
    .symbol:         fft_rtc_fwd_len884_factors_13_4_17_wgs_204_tpt_68_halfLds_dp_ip_CI_unitstride_sbrr_C2R_dirReg.kd
    .uniform_work_group_size: 1
    .uses_dynamic_stack: false
    .vgpr_count:     222
    .vgpr_spill_count: 0
    .wavefront_size: 32
    .workgroup_processor_mode: 1
amdhsa.target:   amdgcn-amd-amdhsa--gfx1030
amdhsa.version:
  - 1
  - 2
...

	.end_amdgpu_metadata
